;; amdgpu-corpus repo=ROCm/rocFFT kind=compiled arch=gfx1201 opt=O3
	.text
	.amdgcn_target "amdgcn-amd-amdhsa--gfx1201"
	.amdhsa_code_object_version 6
	.protected	fft_rtc_back_len1625_factors_13_5_5_5_wgs_130_tpt_65_halfLds_dp_ip_CI_sbrr_dirReg ; -- Begin function fft_rtc_back_len1625_factors_13_5_5_5_wgs_130_tpt_65_halfLds_dp_ip_CI_sbrr_dirReg
	.globl	fft_rtc_back_len1625_factors_13_5_5_5_wgs_130_tpt_65_halfLds_dp_ip_CI_sbrr_dirReg
	.p2align	8
	.type	fft_rtc_back_len1625_factors_13_5_5_5_wgs_130_tpt_65_halfLds_dp_ip_CI_sbrr_dirReg,@function
fft_rtc_back_len1625_factors_13_5_5_5_wgs_130_tpt_65_halfLds_dp_ip_CI_sbrr_dirReg: ; @fft_rtc_back_len1625_factors_13_5_5_5_wgs_130_tpt_65_halfLds_dp_ip_CI_sbrr_dirReg
; %bb.0:
	s_clause 0x2
	s_load_b64 s[12:13], s[0:1], 0x18
	s_load_b128 s[4:7], s[0:1], 0x0
	s_load_b64 s[10:11], s[0:1], 0x50
	v_mul_u32_u24_e32 v1, 0x3f1, v0
	v_mov_b32_e32 v3, 0
	s_delay_alu instid0(VALU_DEP_2) | instskip(SKIP_2) | instid1(VALU_DEP_4)
	v_lshrrev_b32_e32 v106, 16, v1
	v_mov_b32_e32 v1, 0
	v_mov_b32_e32 v2, 0
	;; [unrolled: 1-line block ×3, first 2 shown]
	s_delay_alu instid0(VALU_DEP_4) | instskip(SKIP_3) | instid1(VALU_DEP_1)
	v_lshl_add_u32 v5, ttmp9, 1, v106
	s_wait_kmcnt 0x0
	s_load_b64 s[8:9], s[12:13], 0x0
	v_cmp_lt_u64_e64 s2, s[6:7], 2
	s_and_b32 vcc_lo, exec_lo, s2
	s_cbranch_vccnz .LBB0_8
; %bb.1:
	s_load_b64 s[2:3], s[0:1], 0x10
	v_mov_b32_e32 v1, 0
	v_mov_b32_e32 v2, 0
	s_add_nc_u64 s[14:15], s[12:13], 8
	s_mov_b64 s[16:17], 1
	s_wait_kmcnt 0x0
	s_add_nc_u64 s[18:19], s[2:3], 8
	s_mov_b32 s3, 0
.LBB0_2:                                ; =>This Inner Loop Header: Depth=1
	s_load_b64 s[20:21], s[18:19], 0x0
                                        ; implicit-def: $vgpr7_vgpr8
	s_mov_b32 s2, exec_lo
	s_wait_kmcnt 0x0
	v_or_b32_e32 v4, s21, v6
	s_delay_alu instid0(VALU_DEP_1)
	v_cmpx_ne_u64_e32 0, v[3:4]
	s_wait_alu 0xfffe
	s_xor_b32 s22, exec_lo, s2
	s_cbranch_execz .LBB0_4
; %bb.3:                                ;   in Loop: Header=BB0_2 Depth=1
	s_cvt_f32_u32 s2, s20
	s_cvt_f32_u32 s23, s21
	s_sub_nc_u64 s[26:27], 0, s[20:21]
	s_wait_alu 0xfffe
	s_delay_alu instid0(SALU_CYCLE_1) | instskip(SKIP_1) | instid1(SALU_CYCLE_2)
	s_fmamk_f32 s2, s23, 0x4f800000, s2
	s_wait_alu 0xfffe
	v_s_rcp_f32 s2, s2
	s_delay_alu instid0(TRANS32_DEP_1) | instskip(SKIP_1) | instid1(SALU_CYCLE_2)
	s_mul_f32 s2, s2, 0x5f7ffffc
	s_wait_alu 0xfffe
	s_mul_f32 s23, s2, 0x2f800000
	s_wait_alu 0xfffe
	s_delay_alu instid0(SALU_CYCLE_2) | instskip(SKIP_1) | instid1(SALU_CYCLE_2)
	s_trunc_f32 s23, s23
	s_wait_alu 0xfffe
	s_fmamk_f32 s2, s23, 0xcf800000, s2
	s_cvt_u32_f32 s25, s23
	s_wait_alu 0xfffe
	s_delay_alu instid0(SALU_CYCLE_1) | instskip(SKIP_1) | instid1(SALU_CYCLE_2)
	s_cvt_u32_f32 s24, s2
	s_wait_alu 0xfffe
	s_mul_u64 s[28:29], s[26:27], s[24:25]
	s_wait_alu 0xfffe
	s_mul_hi_u32 s31, s24, s29
	s_mul_i32 s30, s24, s29
	s_mul_hi_u32 s2, s24, s28
	s_mul_i32 s33, s25, s28
	s_wait_alu 0xfffe
	s_add_nc_u64 s[30:31], s[2:3], s[30:31]
	s_mul_hi_u32 s23, s25, s28
	s_mul_hi_u32 s34, s25, s29
	s_add_co_u32 s2, s30, s33
	s_wait_alu 0xfffe
	s_add_co_ci_u32 s2, s31, s23
	s_mul_i32 s28, s25, s29
	s_add_co_ci_u32 s29, s34, 0
	s_wait_alu 0xfffe
	s_add_nc_u64 s[28:29], s[2:3], s[28:29]
	s_wait_alu 0xfffe
	v_add_co_u32 v4, s2, s24, s28
	s_delay_alu instid0(VALU_DEP_1) | instskip(SKIP_1) | instid1(VALU_DEP_1)
	s_cmp_lg_u32 s2, 0
	s_add_co_ci_u32 s25, s25, s29
	v_readfirstlane_b32 s24, v4
	s_wait_alu 0xfffe
	s_delay_alu instid0(VALU_DEP_1)
	s_mul_u64 s[26:27], s[26:27], s[24:25]
	s_wait_alu 0xfffe
	s_mul_hi_u32 s29, s24, s27
	s_mul_i32 s28, s24, s27
	s_mul_hi_u32 s2, s24, s26
	s_mul_i32 s30, s25, s26
	s_wait_alu 0xfffe
	s_add_nc_u64 s[28:29], s[2:3], s[28:29]
	s_mul_hi_u32 s23, s25, s26
	s_mul_hi_u32 s24, s25, s27
	s_wait_alu 0xfffe
	s_add_co_u32 s2, s28, s30
	s_add_co_ci_u32 s2, s29, s23
	s_mul_i32 s26, s25, s27
	s_add_co_ci_u32 s27, s24, 0
	s_wait_alu 0xfffe
	s_add_nc_u64 s[26:27], s[2:3], s[26:27]
	s_wait_alu 0xfffe
	v_add_co_u32 v4, s2, v4, s26
	s_delay_alu instid0(VALU_DEP_1) | instskip(SKIP_1) | instid1(VALU_DEP_1)
	s_cmp_lg_u32 s2, 0
	s_add_co_ci_u32 s2, s25, s27
	v_mul_hi_u32 v13, v5, v4
	s_wait_alu 0xfffe
	v_mad_co_u64_u32 v[7:8], null, v5, s2, 0
	v_mad_co_u64_u32 v[9:10], null, v6, v4, 0
	;; [unrolled: 1-line block ×3, first 2 shown]
	s_delay_alu instid0(VALU_DEP_3) | instskip(SKIP_1) | instid1(VALU_DEP_4)
	v_add_co_u32 v4, vcc_lo, v13, v7
	s_wait_alu 0xfffd
	v_add_co_ci_u32_e32 v7, vcc_lo, 0, v8, vcc_lo
	s_delay_alu instid0(VALU_DEP_2) | instskip(SKIP_1) | instid1(VALU_DEP_2)
	v_add_co_u32 v4, vcc_lo, v4, v9
	s_wait_alu 0xfffd
	v_add_co_ci_u32_e32 v4, vcc_lo, v7, v10, vcc_lo
	s_wait_alu 0xfffd
	v_add_co_ci_u32_e32 v7, vcc_lo, 0, v12, vcc_lo
	s_delay_alu instid0(VALU_DEP_2) | instskip(SKIP_1) | instid1(VALU_DEP_2)
	v_add_co_u32 v4, vcc_lo, v4, v11
	s_wait_alu 0xfffd
	v_add_co_ci_u32_e32 v9, vcc_lo, 0, v7, vcc_lo
	s_delay_alu instid0(VALU_DEP_2) | instskip(SKIP_1) | instid1(VALU_DEP_3)
	v_mul_lo_u32 v10, s21, v4
	v_mad_co_u64_u32 v[7:8], null, s20, v4, 0
	v_mul_lo_u32 v11, s20, v9
	s_delay_alu instid0(VALU_DEP_2) | instskip(NEXT) | instid1(VALU_DEP_2)
	v_sub_co_u32 v7, vcc_lo, v5, v7
	v_add3_u32 v8, v8, v11, v10
	s_delay_alu instid0(VALU_DEP_1) | instskip(SKIP_1) | instid1(VALU_DEP_1)
	v_sub_nc_u32_e32 v10, v6, v8
	s_wait_alu 0xfffd
	v_subrev_co_ci_u32_e64 v10, s2, s21, v10, vcc_lo
	v_add_co_u32 v11, s2, v4, 2
	s_wait_alu 0xf1ff
	v_add_co_ci_u32_e64 v12, s2, 0, v9, s2
	v_sub_co_u32 v13, s2, v7, s20
	v_sub_co_ci_u32_e32 v8, vcc_lo, v6, v8, vcc_lo
	s_wait_alu 0xf1ff
	v_subrev_co_ci_u32_e64 v10, s2, 0, v10, s2
	s_delay_alu instid0(VALU_DEP_3) | instskip(NEXT) | instid1(VALU_DEP_3)
	v_cmp_le_u32_e32 vcc_lo, s20, v13
	v_cmp_eq_u32_e64 s2, s21, v8
	s_wait_alu 0xfffd
	v_cndmask_b32_e64 v13, 0, -1, vcc_lo
	v_cmp_le_u32_e32 vcc_lo, s21, v10
	s_wait_alu 0xfffd
	v_cndmask_b32_e64 v14, 0, -1, vcc_lo
	v_cmp_le_u32_e32 vcc_lo, s20, v7
	;; [unrolled: 3-line block ×3, first 2 shown]
	s_wait_alu 0xfffd
	v_cndmask_b32_e64 v15, 0, -1, vcc_lo
	v_cmp_eq_u32_e32 vcc_lo, s21, v10
	s_wait_alu 0xf1ff
	s_delay_alu instid0(VALU_DEP_2)
	v_cndmask_b32_e64 v7, v15, v7, s2
	s_wait_alu 0xfffd
	v_cndmask_b32_e32 v10, v14, v13, vcc_lo
	v_add_co_u32 v13, vcc_lo, v4, 1
	s_wait_alu 0xfffd
	v_add_co_ci_u32_e32 v14, vcc_lo, 0, v9, vcc_lo
	s_delay_alu instid0(VALU_DEP_3) | instskip(SKIP_2) | instid1(VALU_DEP_3)
	v_cmp_ne_u32_e32 vcc_lo, 0, v10
	s_wait_alu 0xfffd
	v_cndmask_b32_e32 v10, v13, v11, vcc_lo
	v_cndmask_b32_e32 v8, v14, v12, vcc_lo
	v_cmp_ne_u32_e32 vcc_lo, 0, v7
	s_wait_alu 0xfffd
	s_delay_alu instid0(VALU_DEP_2)
	v_dual_cndmask_b32 v7, v4, v10 :: v_dual_cndmask_b32 v8, v9, v8
.LBB0_4:                                ;   in Loop: Header=BB0_2 Depth=1
	s_wait_alu 0xfffe
	s_and_not1_saveexec_b32 s2, s22
	s_cbranch_execz .LBB0_6
; %bb.5:                                ;   in Loop: Header=BB0_2 Depth=1
	v_cvt_f32_u32_e32 v4, s20
	s_sub_co_i32 s22, 0, s20
	s_delay_alu instid0(VALU_DEP_1) | instskip(NEXT) | instid1(TRANS32_DEP_1)
	v_rcp_iflag_f32_e32 v4, v4
	v_mul_f32_e32 v4, 0x4f7ffffe, v4
	s_delay_alu instid0(VALU_DEP_1) | instskip(SKIP_1) | instid1(VALU_DEP_1)
	v_cvt_u32_f32_e32 v4, v4
	s_wait_alu 0xfffe
	v_mul_lo_u32 v7, s22, v4
	s_delay_alu instid0(VALU_DEP_1) | instskip(NEXT) | instid1(VALU_DEP_1)
	v_mul_hi_u32 v7, v4, v7
	v_add_nc_u32_e32 v4, v4, v7
	s_delay_alu instid0(VALU_DEP_1) | instskip(NEXT) | instid1(VALU_DEP_1)
	v_mul_hi_u32 v4, v5, v4
	v_mul_lo_u32 v7, v4, s20
	v_add_nc_u32_e32 v8, 1, v4
	s_delay_alu instid0(VALU_DEP_2) | instskip(NEXT) | instid1(VALU_DEP_1)
	v_sub_nc_u32_e32 v7, v5, v7
	v_subrev_nc_u32_e32 v9, s20, v7
	v_cmp_le_u32_e32 vcc_lo, s20, v7
	s_wait_alu 0xfffd
	s_delay_alu instid0(VALU_DEP_2) | instskip(NEXT) | instid1(VALU_DEP_1)
	v_dual_cndmask_b32 v7, v7, v9 :: v_dual_cndmask_b32 v4, v4, v8
	v_cmp_le_u32_e32 vcc_lo, s20, v7
	s_delay_alu instid0(VALU_DEP_2) | instskip(SKIP_1) | instid1(VALU_DEP_1)
	v_add_nc_u32_e32 v8, 1, v4
	s_wait_alu 0xfffd
	v_dual_cndmask_b32 v7, v4, v8 :: v_dual_mov_b32 v8, v3
.LBB0_6:                                ;   in Loop: Header=BB0_2 Depth=1
	s_wait_alu 0xfffe
	s_or_b32 exec_lo, exec_lo, s2
	s_load_b64 s[22:23], s[14:15], 0x0
	s_delay_alu instid0(VALU_DEP_1)
	v_mul_lo_u32 v4, v8, s20
	v_mul_lo_u32 v11, v7, s21
	v_mad_co_u64_u32 v[9:10], null, v7, s20, 0
	s_add_nc_u64 s[16:17], s[16:17], 1
	s_add_nc_u64 s[14:15], s[14:15], 8
	s_wait_alu 0xfffe
	v_cmp_ge_u64_e64 s2, s[16:17], s[6:7]
	s_add_nc_u64 s[18:19], s[18:19], 8
	s_delay_alu instid0(VALU_DEP_2) | instskip(NEXT) | instid1(VALU_DEP_3)
	v_add3_u32 v4, v10, v11, v4
	v_sub_co_u32 v5, vcc_lo, v5, v9
	s_wait_alu 0xfffd
	s_delay_alu instid0(VALU_DEP_2) | instskip(SKIP_3) | instid1(VALU_DEP_2)
	v_sub_co_ci_u32_e32 v4, vcc_lo, v6, v4, vcc_lo
	s_and_b32 vcc_lo, exec_lo, s2
	s_wait_kmcnt 0x0
	v_mul_lo_u32 v6, s23, v5
	v_mul_lo_u32 v4, s22, v4
	v_mad_co_u64_u32 v[1:2], null, s22, v5, v[1:2]
	s_delay_alu instid0(VALU_DEP_1)
	v_add3_u32 v2, v6, v2, v4
	s_wait_alu 0xfffe
	s_cbranch_vccnz .LBB0_9
; %bb.7:                                ;   in Loop: Header=BB0_2 Depth=1
	v_dual_mov_b32 v5, v7 :: v_dual_mov_b32 v6, v8
	s_branch .LBB0_2
.LBB0_8:
	v_dual_mov_b32 v8, v6 :: v_dual_mov_b32 v7, v5
.LBB0_9:
	s_lshl_b64 s[2:3], s[6:7], 3
	v_mul_hi_u32 v5, 0x3f03f04, v0
	s_wait_alu 0xfffe
	s_add_nc_u64 s[2:3], s[12:13], s[2:3]
                                        ; implicit-def: $vgpr14_vgpr15
                                        ; implicit-def: $vgpr30_vgpr31
                                        ; implicit-def: $vgpr42_vgpr43
                                        ; implicit-def: $vgpr26_vgpr27
                                        ; implicit-def: $vgpr22_vgpr23
                                        ; implicit-def: $vgpr18_vgpr19
                                        ; implicit-def: $vgpr34_vgpr35
                                        ; implicit-def: $vgpr38_vgpr39
                                        ; implicit-def: $vgpr46_vgpr47
                                        ; implicit-def: $vgpr50_vgpr51
                                        ; implicit-def: $vgpr10_vgpr11
                                        ; implicit-def: $vgpr54_vgpr55
                                        ; implicit-def: $vgpr58_vgpr59
                                        ; implicit-def: $vgpr62_vgpr63
                                        ; implicit-def: $vgpr82_vgpr83
                                        ; implicit-def: $vgpr90_vgpr91
                                        ; implicit-def: $vgpr74_vgpr75
                                        ; implicit-def: $vgpr78_vgpr79
                                        ; implicit-def: $vgpr70_vgpr71
                                        ; implicit-def: $vgpr86_vgpr87
                                        ; implicit-def: $vgpr94_vgpr95
                                        ; implicit-def: $vgpr102_vgpr103
                                        ; implicit-def: $vgpr98_vgpr99
                                        ; implicit-def: $vgpr66_vgpr67
	s_load_b64 s[2:3], s[2:3], 0x0
	s_load_b64 s[0:1], s[0:1], 0x20
	s_wait_kmcnt 0x0
	v_mul_lo_u32 v3, s2, v8
	v_mul_lo_u32 v4, s3, v7
	v_mad_co_u64_u32 v[1:2], null, s2, v7, v[1:2]
	v_cmp_gt_u64_e32 vcc_lo, s[0:1], v[7:8]
                                        ; implicit-def: $vgpr6_vgpr7
	s_delay_alu instid0(VALU_DEP_2) | instskip(SKIP_1) | instid1(VALU_DEP_2)
	v_add3_u32 v2, v4, v2, v3
	v_mul_u32_u24_e32 v3, 0x41, v5
	v_lshlrev_b64_e32 v[104:105], 4, v[1:2]
	s_delay_alu instid0(VALU_DEP_2)
	v_sub_nc_u32_e32 v110, v0, v3
                                        ; implicit-def: $vgpr2_vgpr3
	s_and_saveexec_b32 s1, vcc_lo
	s_cbranch_execz .LBB0_13
; %bb.10:
	s_delay_alu instid0(VALU_DEP_1) | instskip(SKIP_3) | instid1(VALU_DEP_4)
	v_add_nc_u32_e32 v3, 0x7d, v110
	v_mad_co_u64_u32 v[0:1], null, s8, v110, 0
	v_add_nc_u32_e32 v13, 0x177, v110
	v_add_nc_u32_e32 v18, 0x4e2, v110
	v_mad_co_u64_u32 v[4:5], null, s8, v3, 0
	s_mov_b32 s2, exec_lo
	s_delay_alu instid0(VALU_DEP_3) | instskip(SKIP_2) | instid1(VALU_DEP_4)
	v_mad_co_u64_u32 v[8:9], null, s8, v13, 0
	v_mad_co_u64_u32 v[1:2], null, s9, v110, v[1:2]
                                        ; implicit-def: $vgpr48_vgpr49
                                        ; implicit-def: $vgpr44_vgpr45
                                        ; implicit-def: $vgpr36_vgpr37
                                        ; implicit-def: $vgpr32_vgpr33
                                        ; implicit-def: $vgpr24_vgpr25
                                        ; implicit-def: $vgpr40_vgpr41
                                        ; implicit-def: $vgpr28_vgpr29
	v_add_nc_u32_e32 v16, 0x2ee, v110
	v_dual_mov_b32 v2, v5 :: v_dual_add_nc_u32 v19, 0x55f, v110
	s_delay_alu instid0(VALU_DEP_1)
	v_mad_co_u64_u32 v[10:11], null, s9, v3, v[2:3]
	v_add_nc_u32_e32 v12, 0xfa, v110
	v_lshlrev_b64_e32 v[0:1], 4, v[0:1]
	v_add_co_u32 v2, s0, s10, v104
	s_wait_alu 0xf1ff
	v_add_co_ci_u32_e64 v3, s0, s11, v105, s0
	v_mov_b32_e32 v5, v10
	v_mad_co_u64_u32 v[6:7], null, s8, v12, 0
	v_add_co_u32 v0, s0, v2, v0
	s_delay_alu instid0(VALU_DEP_3) | instskip(SKIP_2) | instid1(VALU_DEP_4)
	v_lshlrev_b64_e32 v[4:5], 4, v[4:5]
	s_wait_alu 0xf1ff
	v_add_co_ci_u32_e64 v1, s0, v3, v1, s0
	v_mad_co_u64_u32 v[10:11], null, s9, v12, v[7:8]
	v_add_nc_u32_e32 v14, 0x1f4, v110
	s_delay_alu instid0(VALU_DEP_4)
	v_add_co_u32 v4, s0, v2, v4
	s_wait_alu 0xf1ff
	v_add_co_ci_u32_e64 v5, s0, v3, v5, s0
	s_clause 0x1
	global_load_b128 v[64:67], v[0:1], off
	global_load_b128 v[96:99], v[4:5], off
	v_mov_b32_e32 v7, v10
	v_mad_co_u64_u32 v[11:12], null, s9, v13, v[9:10]
	v_mad_co_u64_u32 v[12:13], null, s8, v14, 0
	v_add_nc_u32_e32 v15, 0x271, v110
	s_delay_alu instid0(VALU_DEP_4) | instskip(NEXT) | instid1(VALU_DEP_3)
	v_lshlrev_b64_e32 v[0:1], 4, v[6:7]
	v_dual_mov_b32 v9, v11 :: v_dual_mov_b32 v4, v13
	s_delay_alu instid0(VALU_DEP_3) | instskip(NEXT) | instid1(VALU_DEP_2)
	v_mad_co_u64_u32 v[5:6], null, s8, v15, 0
	v_lshlrev_b64_e32 v[7:8], 4, v[8:9]
	s_delay_alu instid0(VALU_DEP_4) | instskip(SKIP_2) | instid1(VALU_DEP_4)
	v_add_co_u32 v0, s0, v2, v0
	s_wait_alu 0xf1ff
	v_add_co_ci_u32_e64 v1, s0, v3, v1, s0
	v_mad_co_u64_u32 v[9:10], null, s9, v14, v[4:5]
	v_mov_b32_e32 v4, v6
	v_mad_co_u64_u32 v[10:11], null, s8, v16, 0
	v_add_co_u32 v6, s0, v2, v7
	s_wait_alu 0xf1ff
	v_add_co_ci_u32_e64 v7, s0, v3, v8, s0
	v_mov_b32_e32 v13, v9
	v_mad_co_u64_u32 v[8:9], null, s9, v15, v[4:5]
	v_dual_mov_b32 v4, v11 :: v_dual_add_nc_u32 v17, 0x36b, v110
	s_clause 0x1
	global_load_b128 v[100:103], v[0:1], off
	global_load_b128 v[92:95], v[6:7], off
	v_mad_co_u64_u32 v[14:15], null, s8, v17, 0
	v_mov_b32_e32 v6, v8
	v_lshlrev_b64_e32 v[0:1], 4, v[12:13]
	v_mad_co_u64_u32 v[11:12], null, s9, v16, v[4:5]
	v_add_nc_u32_e32 v12, 0x3e8, v110
	s_delay_alu instid0(VALU_DEP_4) | instskip(SKIP_4) | instid1(VALU_DEP_3)
	v_lshlrev_b64_e32 v[5:6], 4, v[5:6]
	v_mov_b32_e32 v4, v15
	v_add_co_u32 v0, s0, v2, v0
	s_wait_alu 0xf1ff
	v_add_co_ci_u32_e64 v1, s0, v3, v1, s0
	v_mad_co_u64_u32 v[7:8], null, s9, v17, v[4:5]
	v_lshlrev_b64_e32 v[8:9], 4, v[10:11]
	v_mad_co_u64_u32 v[10:11], null, s8, v12, 0
	v_add_co_u32 v4, s0, v2, v5
	s_wait_alu 0xf1ff
	v_add_co_ci_u32_e64 v5, s0, v3, v6, s0
	v_mov_b32_e32 v15, v7
	s_clause 0x1
	global_load_b128 v[84:87], v[0:1], off
	global_load_b128 v[68:71], v[4:5], off
	v_mov_b32_e32 v4, v11
	v_add_co_u32 v0, s0, v2, v8
	v_lshlrev_b64_e32 v[5:6], 4, v[14:15]
	s_wait_alu 0xf1ff
	v_add_co_ci_u32_e64 v1, s0, v3, v9, s0
	v_mad_co_u64_u32 v[14:15], null, s8, v19, 0
	s_delay_alu instid0(VALU_DEP_3)
	v_mad_co_u64_u32 v[7:8], null, s9, v12, v[4:5]
	v_mad_co_u64_u32 v[12:13], null, s8, v18, 0
	v_add_nc_u32_e32 v16, 0x465, v110
	v_add_co_u32 v4, s0, v2, v5
	s_wait_alu 0xf1ff
	v_add_co_ci_u32_e64 v5, s0, v3, v6, s0
	v_mov_b32_e32 v11, v7
	v_mov_b32_e32 v7, v13
	v_mad_co_u64_u32 v[8:9], null, s8, v16, 0
	s_clause 0x1
	global_load_b128 v[76:79], v[0:1], off
	global_load_b128 v[72:75], v[4:5], off
	v_mov_b32_e32 v0, v15
	v_lshlrev_b64_e32 v[4:5], 4, v[10:11]
	v_mov_b32_e32 v6, v9
	s_delay_alu instid0(VALU_DEP_3) | instskip(NEXT) | instid1(VALU_DEP_3)
	v_mad_co_u64_u32 v[0:1], null, s9, v19, v[0:1]
	v_add_co_u32 v4, s0, v2, v4
	s_delay_alu instid0(VALU_DEP_3) | instskip(SKIP_2) | instid1(VALU_DEP_2)
	v_mad_co_u64_u32 v[16:17], null, s9, v16, v[6:7]
	s_wait_alu 0xf1ff
	v_add_co_ci_u32_e64 v5, s0, v3, v5, s0
	v_mov_b32_e32 v9, v16
	v_mad_co_u64_u32 v[6:7], null, s9, v18, v[7:8]
	s_delay_alu instid0(VALU_DEP_1) | instskip(NEXT) | instid1(VALU_DEP_1)
	v_dual_mov_b32 v13, v6 :: v_dual_add_nc_u32 v20, 0x5dc, v110
	v_mad_co_u64_u32 v[17:18], null, s8, v20, 0
	s_delay_alu instid0(VALU_DEP_4) | instskip(NEXT) | instid1(VALU_DEP_2)
	v_lshlrev_b64_e32 v[6:7], 4, v[8:9]
	v_mov_b32_e32 v1, v18
	s_delay_alu instid0(VALU_DEP_1)
	v_mad_co_u64_u32 v[8:9], null, s9, v20, v[1:2]
	v_lshlrev_b64_e32 v[9:10], 4, v[12:13]
	v_mov_b32_e32 v15, v0
	v_add_co_u32 v0, s0, v2, v6
	s_wait_alu 0xf1ff
	v_add_co_ci_u32_e64 v1, s0, v3, v7, s0
	v_mov_b32_e32 v18, v8
	v_lshlrev_b64_e32 v[6:7], 4, v[14:15]
	v_add_co_u32 v8, s0, v2, v9
	s_wait_alu 0xf1ff
	v_add_co_ci_u32_e64 v9, s0, v3, v10, s0
	v_lshlrev_b64_e32 v[10:11], 4, v[17:18]
	s_delay_alu instid0(VALU_DEP_4) | instskip(SKIP_2) | instid1(VALU_DEP_3)
	v_add_co_u32 v6, s0, v2, v6
	s_wait_alu 0xf1ff
	v_add_co_ci_u32_e64 v7, s0, v3, v7, s0
                                        ; implicit-def: $vgpr16_vgpr17
                                        ; implicit-def: $vgpr20_vgpr21
                                        ; implicit-def: $vgpr12_vgpr13
	v_add_co_u32 v10, s0, v2, v10
	s_wait_alu 0xf1ff
	v_add_co_ci_u32_e64 v11, s0, v3, v11, s0
	s_clause 0x4
	global_load_b128 v[88:91], v[4:5], off
	global_load_b128 v[80:83], v[0:1], off
	;; [unrolled: 1-line block ×5, first 2 shown]
                                        ; implicit-def: $vgpr8_vgpr9
                                        ; implicit-def: $vgpr4_vgpr5
                                        ; implicit-def: $vgpr0_vgpr1
	v_cmpx_gt_u32_e32 60, v110
	s_cbranch_execz .LBB0_12
; %bb.11:
	v_add_nc_u32_e32 v6, 0x41, v110
	v_add_nc_u32_e32 v9, 0x13b, v110
	;; [unrolled: 1-line block ×5, first 2 shown]
	v_mad_co_u64_u32 v[0:1], null, s8, v6, 0
	v_mad_co_u64_u32 v[12:13], null, s8, v9, 0
	v_add_nc_u32_e32 v107, 0x5a0, v110
	s_delay_alu instid0(VALU_DEP_3) | instskip(SKIP_1) | instid1(VALU_DEP_3)
	v_mad_co_u64_u32 v[6:7], null, s9, v6, v[1:2]
	v_add_nc_u32_e32 v8, 0xbe, v110
	v_mad_co_u64_u32 v[40:41], null, s8, v107, 0
	s_delay_alu instid0(VALU_DEP_3) | instskip(NEXT) | instid1(VALU_DEP_3)
	v_mov_b32_e32 v1, v6
	v_mad_co_u64_u32 v[4:5], null, s8, v8, 0
	s_delay_alu instid0(VALU_DEP_2) | instskip(NEXT) | instid1(VALU_DEP_2)
	v_lshlrev_b64_e32 v[0:1], 4, v[0:1]
	v_mad_co_u64_u32 v[7:8], null, s9, v8, v[5:6]
	v_mov_b32_e32 v6, v13
	s_delay_alu instid0(VALU_DEP_3) | instskip(SKIP_1) | instid1(VALU_DEP_4)
	v_add_co_u32 v0, s0, v2, v0
	s_wait_alu 0xf1ff
	v_add_co_ci_u32_e64 v1, s0, v3, v1, s0
	s_delay_alu instid0(VALU_DEP_4) | instskip(SKIP_2) | instid1(VALU_DEP_3)
	v_mov_b32_e32 v5, v7
	v_mad_co_u64_u32 v[6:7], null, s9, v9, v[6:7]
	v_add_nc_u32_e32 v10, 0x1b8, v110
	v_lshlrev_b64_e32 v[4:5], 4, v[4:5]
	s_delay_alu instid0(VALU_DEP_3) | instskip(NEXT) | instid1(VALU_DEP_3)
	v_mov_b32_e32 v13, v6
	v_mad_co_u64_u32 v[14:15], null, s8, v10, 0
	s_delay_alu instid0(VALU_DEP_3) | instskip(SKIP_1) | instid1(VALU_DEP_4)
	v_add_co_u32 v4, s0, v2, v4
	s_wait_alu 0xf1ff
	v_add_co_ci_u32_e64 v5, s0, v3, v5, s0
	s_delay_alu instid0(VALU_DEP_3) | instskip(NEXT) | instid1(VALU_DEP_1)
	v_mov_b32_e32 v8, v15
	v_mad_co_u64_u32 v[7:8], null, s9, v10, v[8:9]
	s_clause 0x1
	global_load_b128 v[8:11], v[0:1], off
	global_load_b128 v[48:51], v[4:5], off
	v_add_nc_u32_e32 v18, 0x235, v110
	v_mad_co_u64_u32 v[5:6], null, s8, v20, 0
	v_lshlrev_b64_e32 v[0:1], 4, v[12:13]
	v_mov_b32_e32 v15, v7
	s_delay_alu instid0(VALU_DEP_4) | instskip(NEXT) | instid1(VALU_DEP_3)
	v_mad_co_u64_u32 v[16:17], null, s8, v18, 0
	v_add_co_u32 v0, s0, v2, v0
	s_delay_alu instid0(VALU_DEP_3) | instskip(SKIP_2) | instid1(VALU_DEP_4)
	v_lshlrev_b64_e32 v[12:13], 4, v[14:15]
	s_wait_alu 0xf1ff
	v_add_co_ci_u32_e64 v1, s0, v3, v1, s0
	v_mov_b32_e32 v4, v17
	s_delay_alu instid0(VALU_DEP_1)
	v_mad_co_u64_u32 v[14:15], null, s9, v18, v[4:5]
	v_mov_b32_e32 v4, v6
	v_mad_co_u64_u32 v[18:19], null, s8, v21, 0
	v_add_co_u32 v6, s0, v2, v12
	s_wait_alu 0xf1ff
	v_add_co_ci_u32_e64 v7, s0, v3, v13, s0
	v_mov_b32_e32 v17, v14
	v_mad_co_u64_u32 v[12:13], null, s9, v20, v[4:5]
	v_mov_b32_e32 v4, v19
	v_add_nc_u32_e32 v20, 0x523, v110
	v_mad_co_u64_u32 v[13:14], null, s8, v22, 0
	s_clause 0x1
	global_load_b128 v[44:47], v[0:1], off
	global_load_b128 v[36:39], v[6:7], off
	v_lshlrev_b64_e32 v[0:1], 4, v[16:17]
	v_mad_co_u64_u32 v[15:16], null, s9, v21, v[4:5]
	v_mad_co_u64_u32 v[30:31], null, s8, v20, 0
	v_mov_b32_e32 v6, v12
	v_mov_b32_e32 v4, v14
	v_add_nc_u32_e32 v12, 0x429, v110
	v_add_co_u32 v0, s0, v2, v0
	s_delay_alu instid0(VALU_DEP_4) | instskip(SKIP_4) | instid1(VALU_DEP_4)
	v_lshlrev_b64_e32 v[5:6], 4, v[5:6]
	v_mov_b32_e32 v19, v15
	s_wait_alu 0xf1ff
	v_add_co_ci_u32_e64 v1, s0, v3, v1, s0
	v_mad_co_u64_u32 v[28:29], null, s8, v12, 0
	v_mad_co_u64_u32 v[14:15], null, s9, v22, v[4:5]
	v_add_co_u32 v4, s0, v2, v5
	s_wait_alu 0xf1ff
	v_add_co_ci_u32_e64 v5, s0, v3, v6, s0
	v_lshlrev_b64_e32 v[6:7], 4, v[18:19]
	s_clause 0x1
	global_load_b128 v[32:35], v[0:1], off
	global_load_b128 v[16:19], v[4:5], off
	v_dual_mov_b32 v4, v29 :: v_dual_add_nc_u32 v15, 0x4a6, v110
	v_add_co_u32 v0, s0, v2, v6
	v_lshlrev_b64_e32 v[5:6], 4, v[13:14]
	s_wait_alu 0xf1ff
	v_add_co_ci_u32_e64 v1, s0, v3, v7, s0
	v_mov_b32_e32 v7, v31
	s_delay_alu instid0(VALU_DEP_3) | instskip(SKIP_4) | instid1(VALU_DEP_4)
	v_mad_co_u64_u32 v[12:13], null, s9, v12, v[4:5]
	v_mad_co_u64_u32 v[13:14], null, s8, v15, 0
	v_add_co_u32 v4, s0, v2, v5
	s_wait_alu 0xf1ff
	v_add_co_ci_u32_e64 v5, s0, v3, v6, s0
	v_dual_mov_b32 v29, v12 :: v_dual_add_nc_u32 v12, 0x61d, v110
	s_delay_alu instid0(VALU_DEP_4) | instskip(NEXT) | instid1(VALU_DEP_2)
	v_mov_b32_e32 v6, v14
	v_mad_co_u64_u32 v[42:43], null, s8, v12, 0
	s_delay_alu instid0(VALU_DEP_2)
	v_mad_co_u64_u32 v[14:15], null, s9, v15, v[6:7]
	s_wait_loadcnt 0x5
	v_mad_co_u64_u32 v[6:7], null, s9, v20, v[7:8]
	s_clause 0x1
	global_load_b128 v[20:23], v[0:1], off
	global_load_b128 v[24:27], v[4:5], off
	v_mov_b32_e32 v0, v41
	v_lshlrev_b64_e32 v[4:5], 4, v[28:29]
	s_delay_alu instid0(VALU_DEP_2) | instskip(SKIP_4) | instid1(VALU_DEP_4)
	v_mad_co_u64_u32 v[0:1], null, s9, v107, v[0:1]
	v_mov_b32_e32 v1, v43
	v_mov_b32_e32 v31, v6
	v_lshlrev_b64_e32 v[6:7], 4, v[13:14]
	v_add_co_u32 v4, s0, v2, v4
	v_mad_co_u64_u32 v[12:13], null, s9, v12, v[1:2]
	v_mov_b32_e32 v41, v0
	v_lshlrev_b64_e32 v[13:14], 4, v[30:31]
	s_wait_alu 0xf1ff
	v_add_co_ci_u32_e64 v5, s0, v3, v5, s0
	v_add_co_u32 v0, s0, v2, v6
	v_mov_b32_e32 v43, v12
	s_wait_alu 0xf1ff
	v_add_co_ci_u32_e64 v1, s0, v3, v7, s0
	v_lshlrev_b64_e32 v[6:7], 4, v[40:41]
	v_add_co_u32 v12, s0, v2, v13
	s_wait_alu 0xf1ff
	v_add_co_ci_u32_e64 v13, s0, v3, v14, s0
	v_lshlrev_b64_e32 v[14:15], 4, v[42:43]
	s_delay_alu instid0(VALU_DEP_4) | instskip(SKIP_2) | instid1(VALU_DEP_3)
	v_add_co_u32 v6, s0, v2, v6
	s_wait_alu 0xf1ff
	v_add_co_ci_u32_e64 v7, s0, v3, v7, s0
	v_add_co_u32 v2, s0, v2, v14
	s_wait_alu 0xf1ff
	v_add_co_ci_u32_e64 v3, s0, v3, v15, s0
	s_clause 0x4
	global_load_b128 v[40:43], v[4:5], off
	global_load_b128 v[28:31], v[0:1], off
	global_load_b128 v[12:15], v[12:13], off
	global_load_b128 v[4:7], v[6:7], off
	global_load_b128 v[0:3], v[2:3], off
.LBB0_12:
	s_wait_alu 0xfffe
	s_or_b32 exec_lo, exec_lo, s2
.LBB0_13:
	s_wait_alu 0xfffe
	s_or_b32 exec_lo, exec_lo, s1
	s_wait_loadcnt 0xb
	v_add_f64_e32 v[107:108], v[96:97], v[64:65]
	s_wait_loadcnt 0x0
	v_add_f64_e64 v[111:112], v[98:99], -v[54:55]
	s_mov_b32 s44, 0x4267c47c
	s_mov_b32 s30, 0x42a4c3d2
	;; [unrolled: 1-line block ×10, first 2 shown]
	v_add_f64_e64 v[113:114], v[102:103], -v[58:59]
	v_add_f64_e32 v[115:116], v[52:53], v[96:97]
	s_mov_b32 s36, 0x66966769
	s_mov_b32 s37, 0xbfefc445
	;; [unrolled: 1-line block ×13, first 2 shown]
	s_wait_alu 0xfffe
	s_mov_b32 s40, s24
	s_mov_b32 s22, s36
	;; [unrolled: 1-line block ×5, first 2 shown]
	v_add_f64_e64 v[127:128], v[94:95], -v[62:63]
	v_add_f64_e32 v[129:130], v[56:57], v[100:101]
	s_mov_b32 s2, 0xebaa3ed8
	s_mov_b32 s3, 0x3fbedb7d
	;; [unrolled: 1-line block ×4, first 2 shown]
	v_add_f64_e32 v[107:108], v[100:101], v[107:108]
	v_mul_f64_e32 v[117:118], s[44:45], v[111:112]
	v_mul_f64_e32 v[119:120], s[30:31], v[111:112]
	;; [unrolled: 1-line block ×6, first 2 shown]
	v_add_f64_e64 v[153:154], v[86:87], -v[82:83]
	s_mov_b32 s39, 0x3fcea1e5
	s_mov_b32 s38, s26
	;; [unrolled: 1-line block ×4, first 2 shown]
	v_mul_f64_e32 v[131:132], s[30:31], v[113:114]
	v_mul_f64_e32 v[133:134], s[20:21], v[113:114]
	;; [unrolled: 1-line block ×4, first 2 shown]
	s_wait_alu 0xfffe
	v_mul_f64_e32 v[139:140], s[22:23], v[113:114]
	v_mul_f64_e32 v[113:114], s[28:29], v[113:114]
	;; [unrolled: 1-line block ×8, first 2 shown]
	v_add_f64_e32 v[107:108], v[92:93], v[107:108]
	v_fma_f64 v[141:142], v[115:116], s[6:7], v[117:118]
	v_fma_f64 v[143:144], v[115:116], s[12:13], v[119:120]
	v_fma_f64 v[119:120], v[115:116], s[12:13], -v[119:120]
	v_fma_f64 v[145:146], v[115:116], s[14:15], v[121:122]
	v_fma_f64 v[121:122], v[115:116], s[14:15], -v[121:122]
	v_fma_f64 v[147:148], v[115:116], s[16:17], v[123:124]
	v_fma_f64 v[149:150], v[115:116], s[18:19], v[125:126]
	v_fma_f64 v[125:126], v[115:116], s[18:19], -v[125:126]
	v_fma_f64 v[123:124], v[115:116], s[16:17], -v[123:124]
	v_fma_f64 v[151:152], v[115:116], s[2:3], -v[111:112]
	v_fma_f64 v[111:112], v[115:116], s[2:3], v[111:112]
	v_fma_f64 v[115:116], v[115:116], s[6:7], -v[117:118]
	v_add_f64_e32 v[117:118], v[60:61], v[92:93]
	v_fma_f64 v[165:166], v[129:130], s[12:13], v[131:132]
	v_fma_f64 v[131:132], v[129:130], s[12:13], -v[131:132]
	v_fma_f64 v[167:168], v[129:130], s[14:15], v[133:134]
	v_fma_f64 v[133:134], v[129:130], s[14:15], -v[133:134]
	;; [unrolled: 2-line block ×6, first 2 shown]
	v_mul_f64_e32 v[177:178], s[20:21], v[153:154]
	v_mul_f64_e32 v[179:180], s[40:41], v[153:154]
	;; [unrolled: 1-line block ×6, first 2 shown]
	v_add_f64_e32 v[107:108], v[84:85], v[107:108]
	v_add_f64_e32 v[129:130], v[64:65], v[141:142]
	;; [unrolled: 1-line block ×14, first 2 shown]
	v_add_f64_e64 v[151:152], v[70:71], -v[90:91]
	v_fma_f64 v[187:188], v[117:118], s[2:3], v[155:156]
	v_fma_f64 v[155:156], v[117:118], s[2:3], -v[155:156]
	v_fma_f64 v[189:190], v[117:118], s[18:19], v[157:158]
	v_fma_f64 v[157:158], v[117:118], s[18:19], -v[157:158]
	;; [unrolled: 2-line block ×6, first 2 shown]
	v_add_f64_e32 v[107:108], v[68:69], v[107:108]
	v_add_f64_e32 v[127:128], v[165:166], v[129:130]
	;; [unrolled: 1-line block ×14, first 2 shown]
	v_add_f64_e64 v[135:136], v[78:79], -v[74:75]
	v_mul_f64_e32 v[139:140], s[24:25], v[151:152]
	v_mul_f64_e32 v[143:144], s[22:23], v[151:152]
	;; [unrolled: 1-line block ×4, first 2 shown]
	v_fma_f64 v[165:166], v[115:116], s[14:15], v[177:178]
	v_fma_f64 v[167:168], v[115:116], s[14:15], -v[177:178]
	v_fma_f64 v[169:170], v[115:116], s[16:17], v[179:180]
	v_fma_f64 v[173:174], v[115:116], s[6:7], v[181:182]
	v_fma_f64 v[175:176], v[115:116], s[6:7], -v[181:182]
	v_fma_f64 v[177:178], v[115:116], s[2:3], v[183:184]
	v_fma_f64 v[181:182], v[115:116], s[18:19], v[185:186]
	v_mul_f64_e32 v[145:146], s[30:31], v[151:152]
	v_mul_f64_e32 v[151:152], s[20:21], v[151:152]
	v_fma_f64 v[171:172], v[115:116], s[16:17], -v[179:180]
	v_fma_f64 v[179:180], v[115:116], s[2:3], -v[183:184]
	;; [unrolled: 1-line block ×3, first 2 shown]
	v_fma_f64 v[185:186], v[115:116], s[12:13], v[153:154]
	v_fma_f64 v[115:116], v[115:116], s[12:13], -v[153:154]
	v_add_f64_e32 v[107:108], v[76:77], v[107:108]
	v_add_f64_e32 v[127:128], v[187:188], v[127:128]
	;; [unrolled: 1-line block ×14, first 2 shown]
	v_mul_f64_e32 v[153:154], s[26:27], v[135:136]
	v_mul_f64_e32 v[155:156], s[28:29], v[135:136]
	;; [unrolled: 1-line block ×6, first 2 shown]
	v_fma_f64 v[163:164], v[131:132], s[16:17], v[139:140]
	v_fma_f64 v[187:188], v[131:132], s[2:3], v[143:144]
	v_fma_f64 v[191:192], v[131:132], s[18:19], v[147:148]
	v_fma_f64 v[193:194], v[131:132], s[6:7], v[149:150]
	v_fma_f64 v[139:140], v[131:132], s[16:17], -v[139:140]
	v_fma_f64 v[143:144], v[131:132], s[2:3], -v[143:144]
	v_fma_f64 v[189:190], v[131:132], s[12:13], v[145:146]
	v_fma_f64 v[145:146], v[131:132], s[12:13], -v[145:146]
	v_fma_f64 v[147:148], v[131:132], s[18:19], -v[147:148]
	;; [unrolled: 1-line block ×3, first 2 shown]
	v_fma_f64 v[195:196], v[131:132], s[14:15], v[151:152]
	v_fma_f64 v[131:132], v[131:132], s[14:15], -v[151:152]
	v_add_f64_e32 v[107:108], v[72:73], v[107:108]
	v_add_f64_e32 v[127:128], v[165:166], v[127:128]
	;; [unrolled: 1-line block ×13, first 2 shown]
	v_fma_f64 v[123:124], v[125:126], s[18:19], v[153:154]
	v_fma_f64 v[151:152], v[125:126], s[18:19], -v[153:154]
	v_fma_f64 v[153:154], v[125:126], s[6:7], v[155:156]
	v_fma_f64 v[155:156], v[125:126], s[6:7], -v[155:156]
	;; [unrolled: 2-line block ×6, first 2 shown]
	v_add_f64_e32 v[107:108], v[88:89], v[107:108]
	v_add_f64_e32 v[127:128], v[163:164], v[127:128]
	;; [unrolled: 1-line block ×26, first 2 shown]
	v_and_b32_e32 v64, 1, v106
	v_mad_u32_u24 v65, 0x68, v110, 0
	s_delay_alu instid0(VALU_DEP_2) | instskip(SKIP_1) | instid1(VALU_DEP_1)
	v_cmp_eq_u32_e64 s0, 1, v64
	s_wait_alu 0xf1ff
	v_cndmask_b32_e64 v64, 0, 0x659, s0
	v_cmp_gt_u32_e64 s0, 60, v110
	s_delay_alu instid0(VALU_DEP_2) | instskip(SKIP_1) | instid1(VALU_DEP_1)
	v_lshl_add_u32 v106, v64, 3, v65
	v_add_f64_e32 v[107:108], v[60:61], v[107:108]
	v_add_f64_e32 v[107:108], v[56:57], v[107:108]
	s_delay_alu instid0(VALU_DEP_1)
	v_add_f64_e32 v[107:108], v[52:53], v[107:108]
	ds_store_2addr_b64 v106, v[129:130], v[131:132] offset0:4 offset1:5
	ds_store_2addr_b64 v106, v[133:134], v[113:114] offset0:6 offset1:7
	;; [unrolled: 1-line block ×5, first 2 shown]
	ds_store_2addr_b64 v106, v[107:108], v[123:124] offset1:1
	ds_store_b64 v106, v[125:126] offset:96
	s_and_saveexec_b32 s1, s0
	s_cbranch_execz .LBB0_15
; %bb.14:
	v_add_f64_e32 v[107:108], v[48:49], v[8:9]
	v_add_f64_e32 v[111:112], v[0:1], v[48:49]
	;; [unrolled: 1-line block ×3, first 2 shown]
	v_add_f64_e64 v[115:116], v[50:51], -v[2:3]
	v_add_f64_e32 v[127:128], v[12:13], v[36:37]
	v_add_f64_e64 v[129:130], v[46:47], -v[6:7]
	v_add_f64_e64 v[153:154], v[38:39], -v[14:15]
	v_add_nc_u32_e32 v109, 0x1a78, v106
	v_add_nc_u32_e32 v65, 0x1a68, v106
	v_add_f64_e32 v[107:108], v[44:45], v[107:108]
	v_mul_f64_e32 v[117:118], s[18:19], v[111:112]
	v_mul_f64_e32 v[119:120], s[16:17], v[111:112]
	;; [unrolled: 1-line block ×18, first 2 shown]
	v_add_f64_e32 v[107:108], v[36:37], v[107:108]
	v_fma_f64 v[141:142], v[115:116], s[38:39], v[117:118]
	v_fma_f64 v[117:118], v[115:116], s[26:27], v[117:118]
	v_fma_f64 v[143:144], v[115:116], s[40:41], v[119:120]
	v_fma_f64 v[119:120], v[115:116], s[24:25], v[119:120]
	v_fma_f64 v[145:146], v[115:116], s[42:43], v[121:122]
	v_fma_f64 v[147:148], v[115:116], s[36:37], v[123:124]
	v_fma_f64 v[149:150], v[115:116], s[30:31], v[125:126]
	v_fma_f64 v[121:122], v[115:116], s[20:21], v[121:122]
	v_fma_f64 v[123:124], v[115:116], s[22:23], v[123:124]
	v_fma_f64 v[125:126], v[115:116], s[34:35], v[125:126]
	v_fma_f64 v[151:152], v[115:116], s[44:45], v[111:112]
	v_fma_f64 v[111:112], v[115:116], s[28:29], v[111:112]
	v_add_f64_e32 v[115:116], v[28:29], v[32:33]
	v_fma_f64 v[165:166], v[129:130], s[44:45], v[131:132]
	v_fma_f64 v[131:132], v[129:130], s[28:29], v[131:132]
	;; [unrolled: 1-line block ×24, first 2 shown]
	v_add_f64_e32 v[107:108], v[32:33], v[107:108]
	v_add_f64_e32 v[129:130], v[8:9], v[141:142]
	;; [unrolled: 1-line block ×14, first 2 shown]
	v_add_f64_e64 v[151:152], v[34:35], -v[30:31]
	v_mul_f64_e32 v[177:178], s[12:13], v[115:116]
	v_mul_f64_e32 v[179:180], s[18:19], v[115:116]
	;; [unrolled: 1-line block ×6, first 2 shown]
	v_add_f64_e32 v[107:108], v[16:17], v[107:108]
	v_add_f64_e32 v[129:130], v[165:166], v[129:130]
	;; [unrolled: 1-line block ×14, first 2 shown]
	v_add_f64_e64 v[141:142], v[18:19], -v[42:43]
	v_mul_f64_e32 v[143:144], s[14:15], v[111:112]
	v_mul_f64_e32 v[145:146], s[6:7], v[111:112]
	;; [unrolled: 1-line block ×5, first 2 shown]
	v_fma_f64 v[165:166], v[151:152], s[30:31], v[177:178]
	v_fma_f64 v[167:168], v[151:152], s[34:35], v[177:178]
	;; [unrolled: 1-line block ×10, first 2 shown]
	v_mul_f64_e32 v[111:112], s[16:17], v[111:112]
	v_fma_f64 v[185:186], v[151:152], s[42:43], v[115:116]
	v_fma_f64 v[115:116], v[151:152], s[20:21], v[115:116]
	v_add_f64_e32 v[107:108], v[20:21], v[107:108]
	v_add_f64_e32 v[129:130], v[187:188], v[129:130]
	;; [unrolled: 1-line block ×13, first 2 shown]
	v_add_f64_e64 v[127:128], v[22:23], -v[26:27]
	v_mul_f64_e32 v[151:152], s[2:3], v[135:136]
	v_mul_f64_e32 v[155:156], s[14:15], v[135:136]
	;; [unrolled: 1-line block ×6, first 2 shown]
	v_fma_f64 v[163:164], v[141:142], s[42:43], v[143:144]
	v_fma_f64 v[143:144], v[141:142], s[20:21], v[143:144]
	v_fma_f64 v[187:188], v[141:142], s[44:45], v[145:146]
	v_fma_f64 v[189:190], v[141:142], s[26:27], v[147:148]
	v_fma_f64 v[191:192], v[141:142], s[34:35], v[149:150]
	v_fma_f64 v[149:150], v[141:142], s[30:31], v[149:150]
	v_fma_f64 v[193:194], v[141:142], s[36:37], v[153:154]
	v_fma_f64 v[153:154], v[141:142], s[22:23], v[153:154]
	v_fma_f64 v[145:146], v[141:142], s[28:29], v[145:146]
	v_fma_f64 v[147:148], v[141:142], s[38:39], v[147:148]
	v_fma_f64 v[195:196], v[141:142], s[40:41], v[111:112]
	v_fma_f64 v[111:112], v[141:142], s[24:25], v[111:112]
	v_add_f64_e32 v[107:108], v[24:25], v[107:108]
	v_add_f64_e32 v[129:130], v[165:166], v[129:130]
	;; [unrolled: 1-line block ×13, first 2 shown]
	v_fma_f64 v[115:116], v[127:128], s[36:37], v[151:152]
	v_fma_f64 v[141:142], v[127:128], s[22:23], v[151:152]
	v_fma_f64 v[151:152], v[127:128], s[42:43], v[155:156]
	v_fma_f64 v[155:156], v[127:128], s[20:21], v[155:156]
	v_fma_f64 v[165:166], v[127:128], s[30:31], v[157:158]
	v_fma_f64 v[157:158], v[127:128], s[34:35], v[157:158]
	v_fma_f64 v[167:168], v[127:128], s[40:41], v[159:160]
	v_fma_f64 v[159:160], v[127:128], s[24:25], v[159:160]
	v_fma_f64 v[169:170], v[127:128], s[44:45], v[161:162]
	v_fma_f64 v[161:162], v[127:128], s[28:29], v[161:162]
	v_fma_f64 v[171:172], v[127:128], s[38:39], v[135:136]
	v_fma_f64 v[127:128], v[127:128], s[26:27], v[135:136]
	v_add_f64_e32 v[107:108], v[40:41], v[107:108]
	v_add_f64_e32 v[129:130], v[163:164], v[129:130]
	;; [unrolled: 1-line block ×26, first 2 shown]
	v_add_nc_u32_e32 v127, 0x1a88, v106
	v_add_nc_u32_e32 v128, 0x1a98, v106
	;; [unrolled: 1-line block ×4, first 2 shown]
	v_add_f64_e32 v[107:108], v[12:13], v[107:108]
	s_delay_alu instid0(VALU_DEP_1) | instskip(NEXT) | instid1(VALU_DEP_1)
	v_add_f64_e32 v[107:108], v[4:5], v[107:108]
	v_add_f64_e32 v[107:108], v[0:1], v[107:108]
	ds_store_2addr_b64 v109, v[133:134], v[131:132] offset1:1
	ds_store_2addr_b64 v127, v[121:122], v[119:120] offset1:1
	;; [unrolled: 1-line block ×6, first 2 shown]
	ds_store_b64 v106, v[8:9] offset:6856
.LBB0_15:
	s_wait_alu 0xfffe
	s_or_b32 exec_lo, exec_lo, s1
	v_add_f64_e32 v[8:9], v[98:99], v[66:67]
	v_add_f64_e64 v[52:53], v[96:97], -v[52:53]
	v_add_f64_e64 v[56:57], v[100:101], -v[56:57]
	v_add_f64_e32 v[96:97], v[54:55], v[98:99]
	v_add_f64_e64 v[60:61], v[92:93], -v[60:61]
	v_add_f64_e32 v[92:93], v[58:59], v[102:103]
	v_add_f64_e64 v[80:81], v[84:85], -v[80:81]
	global_wb scope:SCOPE_SE
	s_wait_dscnt 0x0
	s_barrier_signal -1
	s_barrier_wait -1
	global_inv scope:SCOPE_SE
	v_add_f64_e32 v[8:9], v[102:103], v[8:9]
	v_mul_f64_e32 v[98:99], s[44:45], v[52:53]
	v_mul_f64_e32 v[100:101], s[30:31], v[52:53]
	;; [unrolled: 1-line block ×18, first 2 shown]
	v_add_f64_e32 v[8:9], v[94:95], v[8:9]
	v_fma_f64 v[123:124], v[96:97], s[6:7], -v[98:99]
	v_fma_f64 v[125:126], v[96:97], s[12:13], -v[100:101]
	v_fma_f64 v[100:101], v[96:97], s[12:13], v[100:101]
	v_fma_f64 v[127:128], v[96:97], s[14:15], -v[107:108]
	v_fma_f64 v[107:108], v[96:97], s[14:15], v[107:108]
	v_fma_f64 v[129:130], v[96:97], s[16:17], -v[111:112]
	v_fma_f64 v[131:132], v[96:97], s[18:19], -v[113:114]
	v_fma_f64 v[113:114], v[96:97], s[18:19], v[113:114]
	v_fma_f64 v[111:112], v[96:97], s[16:17], v[111:112]
	;; [unrolled: 1-line block ×3, first 2 shown]
	v_fma_f64 v[52:53], v[96:97], s[2:3], -v[52:53]
	v_fma_f64 v[96:97], v[96:97], s[6:7], v[98:99]
	v_add_f64_e32 v[94:95], v[62:63], v[94:95]
	v_mul_f64_e32 v[98:99], s[26:27], v[60:61]
	v_mul_f64_e32 v[60:61], s[24:25], v[60:61]
	v_fma_f64 v[141:142], v[92:93], s[12:13], -v[102:103]
	v_fma_f64 v[102:103], v[92:93], s[12:13], v[102:103]
	v_fma_f64 v[143:144], v[92:93], s[14:15], -v[115:116]
	v_fma_f64 v[115:116], v[92:93], s[14:15], v[115:116]
	v_fma_f64 v[145:146], v[92:93], s[18:19], -v[117:118]
	v_fma_f64 v[117:118], v[92:93], s[18:19], v[117:118]
	v_fma_f64 v[147:148], v[92:93], s[16:17], -v[119:120]
	v_fma_f64 v[119:120], v[92:93], s[16:17], v[119:120]
	v_fma_f64 v[149:150], v[92:93], s[2:3], -v[121:122]
	v_fma_f64 v[121:122], v[92:93], s[2:3], v[121:122]
	v_fma_f64 v[151:152], v[92:93], s[6:7], -v[56:57]
	v_fma_f64 v[56:57], v[92:93], s[6:7], v[56:57]
	v_add_f64_e32 v[8:9], v[86:87], v[8:9]
	v_add_f64_e32 v[92:93], v[66:67], v[123:124]
	;; [unrolled: 1-line block ×14, first 2 shown]
	v_add_f64_e64 v[67:68], v[68:69], -v[88:89]
	v_mul_f64_e32 v[88:89], s[20:21], v[80:81]
	v_mul_f64_e32 v[96:97], s[40:41], v[80:81]
	;; [unrolled: 1-line block ×4, first 2 shown]
	v_fma_f64 v[157:158], v[94:95], s[2:3], -v[84:85]
	v_fma_f64 v[84:85], v[94:95], s[2:3], v[84:85]
	v_fma_f64 v[159:160], v[94:95], s[18:19], -v[98:99]
	v_fma_f64 v[98:99], v[94:95], s[18:19], v[98:99]
	;; [unrolled: 2-line block ×6, first 2 shown]
	v_add_f64_e32 v[8:9], v[70:71], v[8:9]
	v_add_f64_e32 v[92:93], v[141:142], v[92:93]
	;; [unrolled: 1-line block ×14, first 2 shown]
	v_add_f64_e64 v[71:72], v[76:77], -v[72:73]
	v_mul_f64_e32 v[76:77], s[24:25], v[67:68]
	v_mul_f64_e32 v[102:103], s[30:31], v[67:68]
	;; [unrolled: 1-line block ×4, first 2 shown]
	v_fma_f64 v[125:126], v[86:87], s[14:15], -v[88:89]
	v_fma_f64 v[88:89], v[86:87], s[14:15], v[88:89]
	v_fma_f64 v[127:128], v[86:87], s[16:17], -v[96:97]
	v_fma_f64 v[96:97], v[86:87], s[16:17], v[96:97]
	;; [unrolled: 2-line block ×6, first 2 shown]
	v_add_f64_e32 v[8:9], v[78:79], v[8:9]
	v_add_f64_e32 v[86:87], v[157:158], v[92:93]
	v_add_f64_e32 v[92:93], v[159:160], v[94:95]
	v_add_f64_e32 v[94:95], v[98:99], v[100:101]
	v_add_f64_e32 v[98:99], v[163:164], v[115:116]
	v_add_f64_e32 v[100:101], v[137:138], v[107:108]
	v_add_f64_e32 v[107:108], v[165:166], v[119:120]
	v_add_f64_e32 v[115:116], v[167:168], v[123:124]
	v_add_f64_e32 v[56:57], v[60:61], v[56:57]
	v_add_f64_e32 v[60:61], v[139:140], v[111:112]
	v_add_f64_e32 v[111:112], v[135:136], v[113:114]
	v_add_f64_e32 v[52:53], v[161:162], v[52:53]
	v_add_f64_e32 v[65:66], v[84:85], v[65:66]
	v_mul_f64_e32 v[84:85], s[24:25], v[71:72]
	v_mul_f64_e32 v[113:114], s[34:35], v[71:72]
	;; [unrolled: 1-line block ×3, first 2 shown]
	v_fma_f64 v[123:124], v[69:70], s[16:17], -v[76:77]
	v_fma_f64 v[137:138], v[69:70], s[12:13], -v[102:103]
	v_fma_f64 v[102:103], v[69:70], s[12:13], v[102:103]
	v_fma_f64 v[139:140], v[69:70], s[18:19], -v[117:118]
	v_fma_f64 v[117:118], v[69:70], s[18:19], v[117:118]
	v_fma_f64 v[149:150], v[69:70], s[6:7], -v[121:122]
	v_fma_f64 v[121:122], v[69:70], s[6:7], v[121:122]
	v_add_f64_e32 v[8:9], v[74:75], v[8:9]
	v_add_f64_e32 v[73:74], v[74:75], v[78:79]
	v_mul_f64_e32 v[78:79], s[26:27], v[71:72]
	v_fma_f64 v[75:76], v[69:70], s[16:17], v[76:77]
	v_add_f64_e32 v[56:57], v[80:81], v[56:57]
	v_add_f64_e32 v[60:61], v[145:146], v[60:61]
	;; [unrolled: 1-line block ×5, first 2 shown]
	v_mul_f64_e32 v[90:91], s[22:23], v[67:68]
	v_mul_f64_e32 v[67:68], s[20:21], v[67:68]
	v_fma_f64 v[129:130], v[73:74], s[12:13], -v[113:114]
	v_fma_f64 v[112:113], v[73:74], s[12:13], v[113:114]
	v_add_f64_e32 v[60:61], v[121:122], v[60:61]
	v_add_f64_e32 v[52:53], v[137:138], v[52:53]
	;; [unrolled: 1-line block ×3, first 2 shown]
	v_mul_f64_e32 v[82:83], s[28:29], v[71:72]
	v_mul_f64_e32 v[71:72], s[22:23], v[71:72]
	v_fma_f64 v[135:136], v[69:70], s[2:3], -v[90:91]
	v_fma_f64 v[90:91], v[69:70], s[2:3], v[90:91]
	v_fma_f64 v[151:152], v[69:70], s[14:15], -v[67:68]
	v_fma_f64 v[67:68], v[69:70], s[14:15], v[67:68]
	v_add_f64_e32 v[69:70], v[125:126], v[86:87]
	v_add_f64_e32 v[86:87], v[127:128], v[92:93]
	;; [unrolled: 1-line block ×7, first 2 shown]
	v_fma_f64 v[127:128], v[73:74], s[16:17], -v[84:85]
	v_fma_f64 v[84:85], v[73:74], s[16:17], v[84:85]
	v_fma_f64 v[114:115], v[73:74], s[14:15], -v[119:120]
	v_fma_f64 v[119:120], v[73:74], s[14:15], v[119:120]
	v_lshlrev_b32_e32 v126, 3, v64
	v_add_f64_e32 v[8:9], v[62:63], v[8:9]
	v_add_f64_e32 v[62:63], v[88:89], v[65:66]
	v_fma_f64 v[65:66], v[73:74], s[18:19], -v[78:79]
	v_fma_f64 v[77:78], v[73:74], s[18:19], v[78:79]
	v_fma_f64 v[88:89], v[73:74], s[6:7], -v[82:83]
	v_fma_f64 v[82:83], v[73:74], s[6:7], v[82:83]
	;; [unrolled: 2-line block ×3, first 2 shown]
	v_add_f64_e32 v[73:74], v[135:136], v[86:87]
	v_add_f64_e32 v[86:87], v[90:91], v[92:93]
	;; [unrolled: 1-line block ×13, first 2 shown]
	v_lshlrev_b32_e32 v62, 3, v110
	s_delay_alu instid0(VALU_DEP_1)
	v_add3_u32 v111, 0, v62, v126
	v_add3_u32 v108, 0, v126, v62
	v_add_f64_e32 v[135:136], v[82:83], v[86:87]
	v_add_f64_e32 v[129:130], v[129:130], v[90:91]
	;; [unrolled: 1-line block ×7, first 2 shown]
	v_add_nc_u32_e32 v109, 0x800, v111
	v_add_f64_e32 v[102:103], v[65:66], v[69:70]
	v_add_nc_u32_e32 v116, 0x1000, v111
	v_add_f64_e32 v[133:134], v[88:89], v[73:74]
	v_add_nc_u32_e32 v117, 0x1c00, v111
	v_add_nc_u32_e32 v118, 0x2400, v111
	;; [unrolled: 1-line block ×3, first 2 shown]
	ds_load_b64 v[100:101], v108
	v_add_nc_u32_e32 v120, 0x2800, v111
	v_add_nc_u32_e32 v121, 0xc00, v111
	v_add_nc_u32_e32 v122, 0x2000, v111
	v_add_nc_u32_e32 v123, 0x400, v111
	v_add_nc_u32_e32 v124, 0x1800, v111
	v_add_nc_u32_e32 v125, 0x2c00, v111
	v_add_nc_u32_e32 v112, 0x41, v110
	v_add_f64_e32 v[8:9], v[54:55], v[8:9]
	v_add_f64_e32 v[145:146], v[77:78], v[58:59]
	ds_load_2addr_b64 v[52:55], v111 offset0:65 offset1:130
	ds_load_2addr_b64 v[96:99], v109 offset0:69 offset1:134
	ds_load_2addr_b64 v[60:63], v116 offset0:73 offset1:138
	ds_load_2addr_b64 v[92:95], v117 offset0:79 offset1:144
	ds_load_2addr_b64 v[64:67], v118 offset0:83 offset1:148
	ds_load_2addr_b64 v[88:91], v119 offset0:75 offset1:140
	ds_load_2addr_b64 v[84:87], v120 offset0:85 offset1:150
	ds_load_2addr_b64 v[80:83], v121 offset0:71 offset1:136
	ds_load_2addr_b64 v[76:79], v122 offset0:81 offset1:146
	ds_load_2addr_b64 v[56:59], v123 offset0:67 offset1:132
	ds_load_2addr_b64 v[72:75], v124 offset0:77 offset1:142
	ds_load_2addr_b64 v[68:71], v125 offset0:87 offset1:152
	global_wb scope:SCOPE_SE
	s_wait_dscnt 0x0
	s_barrier_signal -1
	s_barrier_wait -1
	global_inv scope:SCOPE_SE
	ds_store_2addr_b64 v106, v[129:130], v[113:114] offset0:4 offset1:5
	ds_store_2addr_b64 v106, v[131:132], v[139:140] offset0:6 offset1:7
	ds_store_2addr_b64 v106, v[141:142], v[137:138] offset0:8 offset1:9
	ds_store_2addr_b64 v106, v[143:144], v[135:136] offset0:10 offset1:11
	ds_store_2addr_b64 v106, v[8:9], v[102:103] offset1:1
	ds_store_2addr_b64 v106, v[133:134], v[127:128] offset0:2 offset1:3
	ds_store_b64 v106, v[145:146] offset:96
	s_and_saveexec_b32 s33, s0
	s_cbranch_execz .LBB0_17
; %bb.16:
	v_add_f64_e32 v[8:9], v[50:51], v[10:11]
	v_add_f64_e64 v[0:1], v[48:49], -v[0:1]
	s_mov_b32 s28, 0x42a4c3d2
	s_mov_b32 s14, 0x2ef20147
	;; [unrolled: 1-line block ×10, first 2 shown]
	v_add_f64_e64 v[4:5], v[44:45], -v[4:5]
	v_add_f64_e32 v[44:45], v[2:3], v[50:51]
	s_mov_b32 s30, 0x66966769
	s_mov_b32 s31, 0xbfefc445
	;; [unrolled: 1-line block ×12, first 2 shown]
	s_wait_alu 0xfffe
	s_mov_b32 s34, s20
	s_mov_b32 s26, s30
	;; [unrolled: 1-line block ×4, first 2 shown]
	v_add_f64_e64 v[12:13], v[36:37], -v[12:13]
	v_add_f64_e32 v[36:37], v[6:7], v[46:47]
	s_mov_b32 s37, 0x3fedeba7
	s_mov_b32 s36, s14
	v_add_f64_e64 v[28:29], v[32:33], -v[28:29]
	s_mov_b32 s38, s24
	v_add_f64_e64 v[16:17], v[16:17], -v[40:41]
	v_add_f64_e64 v[20:21], v[20:21], -v[24:25]
	v_add_f64_e32 v[8:9], v[46:47], v[8:9]
	v_mul_f64_e32 v[48:49], s[12:13], v[0:1]
	v_mul_f64_e32 v[50:51], s[28:29], v[0:1]
	;; [unrolled: 1-line block ×6, first 2 shown]
	s_mov_b32 s13, 0x3fddbe06
	v_mul_f64_e32 v[46:47], s[28:29], v[4:5]
	v_mul_f64_e32 v[127:128], s[14:15], v[4:5]
	;; [unrolled: 1-line block ×3, first 2 shown]
	s_wait_alu 0xfffe
	v_mul_f64_e32 v[131:132], s[34:35], v[4:5]
	v_mul_f64_e32 v[133:134], s[26:27], v[4:5]
	;; [unrolled: 1-line block ×7, first 2 shown]
	s_mov_b32 s37, 0x3fea55e2
	s_mov_b32 s36, s28
	v_mul_f64_e32 v[40:41], s[14:15], v[28:29]
	v_mul_f64_e32 v[165:166], s[38:39], v[28:29]
	v_add_f64_e32 v[8:9], v[38:39], v[8:9]
	v_fma_f64 v[135:136], v[44:45], s[0:1], -v[48:49]
	v_fma_f64 v[137:138], v[44:45], s[6:7], -v[50:51]
	v_fma_f64 v[50:51], v[44:45], s[6:7], v[50:51]
	v_fma_f64 v[139:140], v[44:45], s[16:17], -v[102:103]
	v_fma_f64 v[102:103], v[44:45], s[16:17], v[102:103]
	v_fma_f64 v[141:142], v[44:45], s[18:19], -v[106:107]
	v_fma_f64 v[143:144], v[44:45], s[22:23], -v[113:114]
	v_fma_f64 v[113:114], v[44:45], s[22:23], v[113:114]
	v_fma_f64 v[106:107], v[44:45], s[18:19], v[106:107]
	;; [unrolled: 1-line block ×3, first 2 shown]
	v_fma_f64 v[0:1], v[44:45], s[2:3], -v[0:1]
	v_fma_f64 v[44:45], v[44:45], s[0:1], v[48:49]
	v_add_f64_e32 v[38:39], v[14:15], v[38:39]
	v_mul_f64_e32 v[48:49], s[24:25], v[12:13]
	v_mul_f64_e32 v[12:13], s[12:13], v[12:13]
	v_fma_f64 v[153:154], v[36:37], s[6:7], -v[46:47]
	v_fma_f64 v[46:47], v[36:37], s[6:7], v[46:47]
	v_fma_f64 v[155:156], v[36:37], s[16:17], -v[127:128]
	v_fma_f64 v[127:128], v[36:37], s[16:17], v[127:128]
	;; [unrolled: 2-line block ×6, first 2 shown]
	s_wait_alu 0xfffe
	v_mul_f64_e32 v[167:168], s[36:37], v[28:29]
	v_mul_f64_e32 v[24:25], s[20:21], v[16:17]
	v_add_f64_e32 v[8:9], v[34:35], v[8:9]
	v_add_f64_e32 v[36:37], v[10:11], v[135:136]
	;; [unrolled: 1-line block ×14, first 2 shown]
	v_mul_f64_e32 v[44:45], s[34:35], v[28:29]
	v_mul_f64_e32 v[145:146], s[30:31], v[28:29]
	;; [unrolled: 1-line block ×3, first 2 shown]
	v_fma_f64 v[169:170], v[38:39], s[2:3], -v[32:33]
	v_fma_f64 v[32:33], v[38:39], s[2:3], v[32:33]
	v_fma_f64 v[171:172], v[38:39], s[22:23], -v[48:49]
	v_fma_f64 v[48:49], v[38:39], s[22:23], v[48:49]
	;; [unrolled: 2-line block ×6, first 2 shown]
	v_add_f64_e32 v[8:9], v[18:19], v[8:9]
	v_add_f64_e32 v[36:37], v[153:154], v[36:37]
	;; [unrolled: 1-line block ×14, first 2 shown]
	v_mul_f64_e32 v[46:47], s[28:29], v[16:17]
	v_mul_f64_e32 v[129:130], s[38:39], v[16:17]
	;; [unrolled: 1-line block ×3, first 2 shown]
	v_fma_f64 v[137:138], v[34:35], s[16:17], -v[40:41]
	v_fma_f64 v[40:41], v[34:35], s[16:17], v[40:41]
	v_fma_f64 v[139:140], v[34:35], s[18:19], -v[44:45]
	v_fma_f64 v[44:45], v[34:35], s[18:19], v[44:45]
	;; [unrolled: 2-line block ×6, first 2 shown]
	v_add_f64_e32 v[8:9], v[22:23], v[8:9]
	v_add_f64_e32 v[34:35], v[169:170], v[36:37]
	;; [unrolled: 1-line block ×14, first 2 shown]
	v_mul_f64_e32 v[32:33], s[36:37], v[20:21]
	v_mul_f64_e32 v[127:128], s[14:15], v[20:21]
	;; [unrolled: 1-line block ×3, first 2 shown]
	v_fma_f64 v[135:136], v[18:19], s[18:19], -v[24:25]
	v_fma_f64 v[24:25], v[18:19], s[18:19], v[24:25]
	v_fma_f64 v[149:150], v[18:19], s[6:7], -v[46:47]
	v_fma_f64 v[46:47], v[18:19], s[6:7], v[46:47]
	;; [unrolled: 2-line block ×4, first 2 shown]
	v_add_f64_e32 v[8:9], v[26:27], v[8:9]
	v_mul_f64_e32 v[26:27], s[24:25], v[20:21]
	v_add_f64_e32 v[12:13], v[143:144], v[12:13]
	v_add_f64_e32 v[4:5], v[157:158], v[4:5]
	;; [unrolled: 1-line block ×5, first 2 shown]
	v_fma_f64 v[113:114], v[22:23], s[16:17], v[127:128]
	v_add_f64_e32 v[8:9], v[42:43], v[8:9]
	v_mul_f64_e32 v[42:43], s[26:27], v[16:17]
	v_mul_f64_e32 v[16:17], s[12:13], v[16:17]
	v_add_f64_e32 v[12:13], v[129:130], v[12:13]
	v_add_f64_e32 v[4:5], v[133:134], v[4:5]
	v_add_f64_e32 v[28:29], v[46:47], v[28:29]
	v_add_f64_e32 v[0:1], v[149:150], v[0:1]
	v_add_f64_e32 v[8:9], v[30:31], v[8:9]
	v_mul_f64_e32 v[30:31], s[20:21], v[20:21]
	v_mul_f64_e32 v[20:21], s[12:13], v[20:21]
	v_fma_f64 v[147:148], v[18:19], s[2:3], -v[42:43]
	v_fma_f64 v[42:43], v[18:19], s[2:3], v[42:43]
	v_fma_f64 v[163:164], v[18:19], s[0:1], -v[16:17]
	v_fma_f64 v[16:17], v[18:19], s[0:1], v[16:17]
	v_add_f64_e32 v[18:19], v[137:138], v[34:35]
	v_add_f64_e32 v[34:35], v[139:140], v[36:37]
	;; [unrolled: 1-line block ×7, first 2 shown]
	v_fma_f64 v[102:103], v[22:23], s[6:7], -v[32:33]
	v_fma_f64 v[32:33], v[22:23], s[6:7], v[32:33]
	v_fma_f64 v[106:107], v[22:23], s[16:17], -v[127:128]
	v_fma_f64 v[127:128], v[22:23], s[2:3], -v[131:132]
	v_fma_f64 v[131:132], v[22:23], s[2:3], v[131:132]
	v_add_f64_e32 v[8:9], v[14:15], v[8:9]
	v_fma_f64 v[14:15], v[22:23], s[22:23], -v[26:27]
	v_fma_f64 v[26:27], v[22:23], s[22:23], v[26:27]
	v_fma_f64 v[40:41], v[22:23], s[18:19], -v[30:31]
	v_fma_f64 v[30:31], v[22:23], s[18:19], v[30:31]
	;; [unrolled: 2-line block ×3, first 2 shown]
	v_add_f64_e32 v[18:19], v[135:136], v[18:19]
	v_add_f64_e32 v[22:23], v[147:148], v[34:35]
	;; [unrolled: 1-line block ×22, first 2 shown]
	v_mul_u32_u24_e32 v8, 0x68, v112
	s_delay_alu instid0(VALU_DEP_1)
	v_add3_u32 v8, 0, v8, v126
	ds_store_2addr_b64 v8, v[20:21], v[22:23] offset0:4 offset1:5
	ds_store_2addr_b64 v8, v[24:25], v[4:5] offset0:6 offset1:7
	;; [unrolled: 1-line block ×4, first 2 shown]
	ds_store_2addr_b64 v8, v[2:3], v[10:11] offset1:1
	ds_store_2addr_b64 v8, v[14:15], v[0:1] offset0:2 offset1:3
	ds_store_b64 v8, v[6:7] offset:96
.LBB0_17:
	s_or_b32 exec_lo, exec_lo, s33
	v_and_b32_e32 v0, 0xff, v110
	v_and_b32_e32 v1, 0xff, v112
	v_add_nc_u32_e32 v114, 0x82, v110
	global_wb scope:SCOPE_SE
	s_wait_dscnt 0x0
	s_barrier_signal -1
	v_mul_lo_u16 v0, 0x4f, v0
	v_mul_lo_u16 v1, 0x4f, v1
	s_barrier_wait -1
	global_inv scope:SCOPE_SE
	v_and_b32_e32 v129, 0xff, v114
	v_lshrrev_b16 v132, 10, v0
	v_lshrrev_b16 v133, 10, v1
	v_add_nc_u32_e32 v115, 0xc3, v110
	v_add_nc_u32_e32 v113, 0x104, v110
	v_mul_lo_u16 v2, 0x4f, v129
	v_mul_lo_u16 v0, v132, 13
	;; [unrolled: 1-line block ×3, first 2 shown]
	v_and_b32_e32 v127, 0xffff, v115
	v_and_b32_e32 v128, 0xffff, v113
	v_lshrrev_b16 v135, 10, v2
	v_sub_nc_u16 v0, v110, v0
	v_sub_nc_u16 v1, v112, v1
	s_mov_b32 s12, 0x134454ff
	v_mul_u32_u24_e32 v3, 0x4ec5, v128
	v_mul_lo_u16 v2, v135, 13
	v_and_b32_e32 v48, 0xff, v0
	v_and_b32_e32 v49, 0xff, v1
	s_mov_b32 s13, 0xbfee6f0e
	v_lshrrev_b32_e32 v130, 18, v3
	v_sub_nc_u16 v2, v114, v2
	v_lshlrev_b32_e32 v0, 6, v48
	v_lshlrev_b32_e32 v1, 6, v49
	s_mov_b32 s15, 0x3fee6f0e
	s_wait_alu 0xfffe
	s_mov_b32 s14, s12
	v_and_b32_e32 v134, 0xff, v2
	s_clause 0x5
	global_load_b128 v[36:39], v0, s[4:5]
	global_load_b128 v[40:43], v1, s[4:5]
	global_load_b128 v[44:47], v0, s[4:5] offset:32
	global_load_b128 v[138:141], v1, s[4:5] offset:32
	;; [unrolled: 1-line block ×4, first 2 shown]
	v_lshlrev_b32_e32 v2, 6, v134
	v_mul_u32_u24_e32 v1, 0x4ec5, v127
	s_clause 0x1
	global_load_b128 v[158:161], v0, s[4:5] offset:16
	global_load_b128 v[162:165], v0, s[4:5] offset:48
	s_mov_b32 s2, 0x4755a5e
	s_clause 0x2
	global_load_b128 v[146:149], v2, s[4:5] offset:16
	global_load_b128 v[166:169], v2, s[4:5]
	global_load_b128 v[154:157], v2, s[4:5] offset:48
	v_lshrrev_b32_e32 v136, 18, v1
	s_mov_b32 s3, 0xbfe2cf23
	s_mov_b32 s7, 0x3fe2cf23
	s_wait_alu 0xfffe
	s_mov_b32 s6, s2
	v_mul_lo_u16 v129, 0xfd, v129
	v_mul_lo_u16 v1, v136, 13
	s_delay_alu instid0(VALU_DEP_2) | instskip(NEXT) | instid1(VALU_DEP_2)
	v_lshrrev_b16 v215, 14, v129
	v_sub_nc_u16 v0, v115, v1
	v_mad_u32_u24 v129, 0x208, v130, 0
	s_delay_alu instid0(VALU_DEP_2) | instskip(SKIP_1) | instid1(VALU_DEP_2)
	v_and_b32_e32 v137, 0xffff, v0
	v_mul_lo_u16 v0, v130, 13
	v_lshlrev_b32_e32 v4, 6, v137
	s_delay_alu instid0(VALU_DEP_2)
	v_sub_nc_u16 v0, v113, v0
	s_clause 0x1
	global_load_b128 v[16:19], v2, s[4:5] offset:32
	global_load_b128 v[12:15], v4, s[4:5]
	v_and_b32_e32 v131, 0xffff, v0
	s_clause 0x1
	global_load_b128 v[8:11], v4, s[4:5] offset:16
	global_load_b128 v[0:3], v4, s[4:5] offset:32
	v_lshlrev_b32_e32 v20, 6, v131
	s_clause 0x4
	global_load_b128 v[4:7], v4, s[4:5] offset:48
	global_load_b128 v[32:35], v20, s[4:5]
	global_load_b128 v[28:31], v20, s[4:5] offset:16
	global_load_b128 v[24:27], v20, s[4:5] offset:32
	;; [unrolled: 1-line block ×3, first 2 shown]
	ds_load_2addr_b64 v[170:173], v109 offset0:69 offset1:134
	ds_load_2addr_b64 v[174:177], v117 offset0:79 offset1:144
	;; [unrolled: 1-line block ×6, first 2 shown]
	v_lshlrev_b32_e32 v130, 3, v131
	s_wait_loadcnt_dscnt 0x1305
	v_mul_f64_e32 v[50:51], v[170:171], v[38:39]
	v_mul_f64_e32 v[38:39], v[96:97], v[38:39]
	s_wait_loadcnt 0x12
	v_mul_f64_e32 v[194:195], v[172:173], v[42:43]
	s_wait_loadcnt_dscnt 0x1004
	v_mul_f64_e32 v[202:203], v[176:177], v[140:141]
	v_mul_f64_e32 v[198:199], v[98:99], v[42:43]
	v_mul_f64_e32 v[200:201], v[174:175], v[46:47]
	v_mul_f64_e32 v[140:141], v[94:95], v[140:141]
	v_mul_f64_e32 v[46:47], v[92:93], v[46:47]
	s_wait_loadcnt_dscnt 0xf03
	v_mul_f64_e32 v[204:205], v[178:179], v[144:145]
	v_mul_f64_e32 v[144:145], v[88:89], v[144:145]
	s_wait_loadcnt 0xb
	v_mul_f64_e32 v[206:207], v[180:181], v[148:149]
	v_mul_f64_e32 v[148:149], v[90:91], v[148:149]
	s_wait_dscnt 0x2
	v_mul_f64_e32 v[208:209], v[182:183], v[152:153]
	v_mul_f64_e32 v[152:153], v[84:85], v[152:153]
	s_wait_dscnt 0x1
	v_mul_f64_e32 v[210:211], v[188:189], v[160:161]
	v_mul_f64_e32 v[160:161], v[62:63], v[160:161]
	v_fma_f64 v[102:103], v[96:97], v[36:37], v[50:51]
	v_fma_f64 v[106:107], v[170:171], v[36:37], -v[38:39]
	v_fma_f64 v[42:43], v[98:99], v[40:41], v[194:195]
	s_wait_loadcnt 0x9
	v_mul_f64_e32 v[98:99], v[184:185], v[156:157]
	v_mul_f64_e32 v[156:157], v[86:87], v[156:157]
	v_fma_f64 v[38:39], v[94:95], v[138:139], v[202:203]
	s_wait_dscnt 0x0
	v_mul_f64_e32 v[94:95], v[192:193], v[164:165]
	ds_load_2addr_b64 v[194:197], v121 offset0:71 offset1:136
	v_fma_f64 v[96:97], v[172:173], v[40:41], -v[198:199]
	ds_load_2addr_b64 v[170:173], v122 offset0:81 offset1:146
	v_fma_f64 v[92:93], v[92:93], v[44:45], v[200:201]
	ds_load_2addr_b64 v[198:201], v124 offset0:77 offset1:142
	v_fma_f64 v[36:37], v[176:177], v[138:139], -v[140:141]
	ds_load_2addr_b64 v[138:141], v125 offset0:87 offset1:152
	v_fma_f64 v[40:41], v[174:175], v[44:45], -v[46:47]
	v_mul_f64_e32 v[164:165], v[66:67], v[164:165]
	v_fma_f64 v[46:47], v[88:89], v[142:143], v[204:205]
	v_fma_f64 v[88:89], v[178:179], v[142:143], -v[144:145]
	v_mul_f64_e32 v[142:143], v[80:81], v[168:169]
	v_fma_f64 v[44:45], v[90:91], v[146:147], v[206:207]
	s_wait_loadcnt 0x8
	v_mul_f64_e32 v[90:91], v[76:77], v[18:19]
	v_fma_f64 v[50:51], v[180:181], v[146:147], -v[148:149]
	s_wait_loadcnt 0x7
	v_mul_f64_e32 v[178:179], v[82:83], v[14:15]
	s_wait_loadcnt 0x6
	v_mul_f64_e32 v[202:203], v[72:73], v[10:11]
	ds_load_2addr_b64 v[146:149], v123 offset0:67 offset1:132
	s_wait_dscnt 0x4
	v_mul_f64_e32 v[174:175], v[194:195], v[168:169]
	v_mul_f64_e32 v[176:177], v[196:197], v[14:15]
	s_wait_dscnt 0x3
	v_mul_f64_e32 v[168:169], v[170:171], v[18:19]
	s_wait_loadcnt 0x5
	v_mul_f64_e32 v[204:205], v[172:173], v[2:3]
	s_wait_dscnt 0x2
	v_mul_f64_e32 v[180:181], v[198:199], v[10:11]
	v_fma_f64 v[18:19], v[84:85], v[150:151], v[208:209]
	v_fma_f64 v[14:15], v[182:183], v[150:151], -v[152:153]
	v_mul_f64_e32 v[150:151], v[78:79], v[2:3]
	s_wait_loadcnt_dscnt 0x401
	v_mul_f64_e32 v[152:153], v[138:139], v[6:7]
	s_wait_loadcnt 0x1
	v_mul_f64_e32 v[182:183], v[190:191], v[26:27]
	v_fma_f64 v[84:85], v[62:63], v[158:159], v[210:211]
	v_dual_mov_b32 v63, 0 :: v_dual_lshlrev_b32 v62, 2, v110
	v_fma_f64 v[10:11], v[86:87], v[154:155], v[98:99]
	v_mul_f64_e32 v[86:87], v[68:69], v[6:7]
	v_mul_f64_e32 v[98:99], v[186:187], v[34:35]
	v_fma_f64 v[2:3], v[184:185], v[154:155], -v[156:157]
	v_mul_f64_e32 v[154:155], v[60:61], v[34:35]
	v_mul_f64_e32 v[156:157], v[200:201], v[30:31]
	s_wait_loadcnt 0x0
	v_mul_f64_e32 v[184:185], v[140:141], v[22:23]
	v_fma_f64 v[34:35], v[188:189], v[158:159], -v[160:161]
	v_mul_f64_e32 v[158:159], v[74:75], v[30:31]
	v_mul_f64_e32 v[160:161], v[64:65], v[26:27]
	v_fma_f64 v[26:27], v[66:67], v[162:163], v[94:95]
	v_mul_f64_e32 v[66:67], v[70:71], v[22:23]
	v_fma_f64 v[6:7], v[192:193], v[162:163], -v[164:165]
	v_and_b32_e32 v94, 0xffff, v132
	v_and_b32_e32 v95, 0xffff, v133
	v_fma_f64 v[30:31], v[194:195], v[166:167], -v[142:143]
	v_add_f64_e64 v[192:193], v[96:97], -v[88:89]
	ds_load_2addr_b64 v[142:145], v111 offset0:65 offset1:130
	v_fma_f64 v[22:23], v[80:81], v[166:167], v[174:175]
	v_fma_f64 v[80:81], v[82:83], v[12:13], v[176:177]
	;; [unrolled: 1-line block ×3, first 2 shown]
	v_fma_f64 v[16:17], v[170:171], v[16:17], -v[90:91]
	v_fma_f64 v[12:13], v[196:197], v[12:13], -v[178:179]
	v_fma_f64 v[72:73], v[72:73], v[8:9], v[180:181]
	v_fma_f64 v[8:9], v[198:199], v[8:9], -v[202:203]
	v_fma_f64 v[78:79], v[78:79], v[0:1], v[204:205]
	v_fma_f64 v[68:69], v[68:69], v[4:5], v[152:153]
	;; [unrolled: 1-line block ×3, first 2 shown]
	v_fma_f64 v[0:1], v[172:173], v[0:1], -v[150:151]
	v_and_b32_e32 v91, 0xffff, v135
	v_lshlrev_b64_e32 v[82:83], 4, v[62:63]
	v_mad_u32_u24 v62, 0x208, v94, 0
	v_mad_u32_u24 v90, 0x208, v95, 0
	v_fma_f64 v[4:5], v[138:139], v[4:5], -v[86:87]
	v_fma_f64 v[60:61], v[60:61], v[32:33], v[98:99]
	v_mad_u32_u24 v94, 0x208, v136, 0
	v_fma_f64 v[32:33], v[186:187], v[32:33], -v[154:155]
	v_fma_f64 v[74:75], v[74:75], v[28:29], v[156:157]
	v_fma_f64 v[70:71], v[70:71], v[20:21], v[184:185]
	v_lshlrev_b32_e32 v86, 3, v49
	v_fma_f64 v[28:29], v[200:201], v[28:29], -v[158:159]
	v_fma_f64 v[24:25], v[190:191], v[24:25], -v[160:161]
	v_lshlrev_b32_e32 v87, 3, v134
	v_fma_f64 v[20:21], v[140:141], v[20:21], -v[66:67]
	v_mad_u32_u24 v66, 0x208, v91, 0
	v_lshlrev_b32_e32 v91, 3, v137
	v_lshlrev_b32_e32 v67, 3, v48
	v_add_co_u32 v48, s0, s4, v82
	s_wait_alu 0xf1ff
	v_add_co_ci_u32_e64 v49, s0, s5, v83, s0
	v_add3_u32 v212, v90, v86, v126
	v_add3_u32 v213, v66, v87, v126
	;; [unrolled: 1-line block ×3, first 2 shown]
	v_add_f64_e64 v[82:83], v[102:103], -v[84:85]
	v_add_f64_e64 v[86:87], v[26:27], -v[92:93]
	v_add_f64_e32 v[90:91], v[46:47], v[38:39]
	v_add_f64_e32 v[94:95], v[42:43], v[18:19]
	;; [unrolled: 1-line block ×4, first 2 shown]
	v_add_f64_e64 v[136:137], v[84:85], -v[102:103]
	v_add_f64_e32 v[138:139], v[88:89], v[36:37]
	v_add_f64_e32 v[140:141], v[96:97], v[14:15]
	;; [unrolled: 1-line block ×4, first 2 shown]
	v_add_f64_e64 v[154:155], v[92:93], -v[26:27]
	v_add_f64_e64 v[156:157], v[106:107], -v[34:35]
	v_add_f64_e32 v[158:159], v[72:73], v[78:79]
	v_add_f64_e32 v[160:161], v[80:81], v[68:69]
	v_add_f64_e64 v[166:167], v[6:7], -v[40:41]
	v_add_f64_e64 v[168:169], v[34:35], -v[106:107]
	v_add_f64_e32 v[170:171], v[8:9], v[0:1]
	v_add_f64_e32 v[172:173], v[12:13], v[4:5]
	;; [unrolled: 4-line block ×3, first 2 shown]
	v_add_f64_e64 v[184:185], v[18:19], -v[38:39]
	v_add_f64_e64 v[186:187], v[46:47], -v[42:43]
	v_add_f64_e32 v[174:175], v[28:29], v[24:25]
	v_add_f64_e64 v[188:189], v[38:39], -v[18:19]
	v_add_f64_e32 v[176:177], v[32:33], v[20:21]
	v_add_f64_e64 v[194:195], v[14:15], -v[36:37]
	v_add_f64_e64 v[196:197], v[88:89], -v[96:97]
	;; [unrolled: 1-line block ×5, first 2 shown]
	v_add3_u32 v62, v62, v67, v126
	v_add_f64_e32 v[66:67], v[84:85], v[92:93]
	v_add_f64_e32 v[134:135], v[102:103], v[26:27]
	;; [unrolled: 1-line block ×3, first 2 shown]
	s_wait_dscnt 0x0
	v_add_f64_e32 v[190:191], v[142:143], v[96:97]
	v_add_f64_e32 v[200:201], v[54:55], v[22:23]
	v_add_f64_e64 v[206:207], v[44:45], -v[22:23]
	v_add_f64_e64 v[208:209], v[76:77], -v[10:11]
	v_fma_f64 v[90:91], v[90:91], -0.5, v[52:53]
	v_fma_f64 v[52:53], v[94:95], -0.5, v[52:53]
	;; [unrolled: 1-line block ×4, first 2 shown]
	v_add_f64_e32 v[98:99], v[144:145], v[30:31]
	v_add_f64_e64 v[132:133], v[30:31], -v[50:51]
	v_fma_f64 v[138:139], v[138:139], -0.5, v[142:143]
	v_fma_f64 v[140:141], v[140:141], -0.5, v[142:143]
	;; [unrolled: 1-line block ×4, first 2 shown]
	v_add_f64_e64 v[150:151], v[2:3], -v[16:17]
	v_add_f64_e32 v[152:153], v[56:57], v[80:81]
	v_fma_f64 v[158:159], v[158:159], -0.5, v[56:57]
	v_fma_f64 v[56:57], v[160:161], -0.5, v[56:57]
	;; [unrolled: 1-line block ×3, first 2 shown]
	v_add_f64_e32 v[82:83], v[82:83], v[86:87]
	v_add_f64_e64 v[86:87], v[16:17], -v[2:3]
	v_add_f64_e32 v[136:137], v[136:137], v[154:155]
	v_fma_f64 v[160:161], v[162:163], -0.5, v[58:59]
	v_fma_f64 v[162:163], v[164:165], -0.5, v[58:59]
	v_add_f64_e32 v[164:165], v[146:147], v[12:13]
	v_fma_f64 v[146:147], v[172:173], -0.5, v[146:147]
	v_fma_f64 v[172:173], v[174:175], -0.5, v[148:149]
	v_add_f64_e64 v[154:155], v[80:81], -v[72:73]
	v_fma_f64 v[174:175], v[176:177], -0.5, v[148:149]
	v_add_f64_e64 v[176:177], v[50:51], -v[30:31]
	v_add_f64_e32 v[156:157], v[156:157], v[166:167]
	v_add_f64_e64 v[166:167], v[68:69], -v[78:79]
	v_add_f64_e32 v[168:169], v[168:169], v[178:179]
	;; [unrolled: 2-line block ×8, first 2 shown]
	v_add_f64_e64 v[208:209], v[60:61], -v[74:75]
	v_fma_f64 v[66:67], v[66:67], -0.5, v[100:101]
	v_fma_f64 v[134:135], v[134:135], -0.5, v[100:101]
	v_add_f64_e32 v[100:101], v[100:101], v[102:103]
	v_add_f64_e32 v[58:59], v[58:59], v[60:61]
	;; [unrolled: 1-line block ×3, first 2 shown]
	v_add_f64_e64 v[102:103], v[102:103], -v[26:27]
	v_add_f64_e32 v[132:133], v[132:133], v[150:151]
	v_add_f64_e64 v[150:151], v[70:71], -v[64:65]
	v_add_f64_e32 v[180:181], v[180:181], v[46:47]
	v_add_f64_e32 v[190:191], v[190:191], v[88:89]
	;; [unrolled: 1-line block ×3, first 2 shown]
	v_add_f64_e64 v[96:97], v[96:97], -v[14:15]
	v_add_f64_e32 v[98:99], v[98:99], v[50:51]
	v_add_f64_e64 v[88:89], v[88:89], -v[36:37]
	v_add_f64_e32 v[152:153], v[152:153], v[72:73]
	;; [unrolled: 2-line block ×3, first 2 shown]
	v_add_f64_e64 v[46:47], v[46:47], -v[38:39]
	v_add_f64_e64 v[30:31], v[30:31], -v[2:3]
	;; [unrolled: 1-line block ×4, first 2 shown]
	v_add_f64_e32 v[86:87], v[176:177], v[86:87]
	v_add_f64_e64 v[176:177], v[74:75], -v[60:61]
	v_add_f64_e32 v[154:155], v[154:155], v[166:167]
	v_add_f64_e64 v[166:167], v[64:65], -v[70:71]
	v_add_f64_e64 v[8:9], v[8:9], -v[0:1]
	v_add_f64_e64 v[22:23], v[22:23], -v[10:11]
	v_add_f64_e32 v[178:179], v[178:179], v[184:185]
	v_add_f64_e32 v[184:185], v[34:35], v[40:41]
	v_add_f64_e64 v[44:45], v[44:45], -v[76:77]
	v_add_f64_e64 v[80:81], v[80:81], -v[68:69]
	v_add_f64_e32 v[188:189], v[188:189], v[194:195]
	v_add_f64_e32 v[194:195], v[106:107], v[6:7]
	v_add_f64_e64 v[72:73], v[72:73], -v[78:79]
	v_add_f64_e64 v[60:61], v[60:61], -v[70:71]
	v_add_f64_e32 v[198:199], v[198:199], v[204:205]
	ds_load_b64 v[204:205], v108
	s_mov_b32 s0, 0x372fe950
	s_mov_b32 s1, 0x3fd3c6ef
	global_wb scope:SCOPE_SE
	s_wait_dscnt 0x0
	v_add_f64_e32 v[100:101], v[100:101], v[84:85]
	v_add_f64_e64 v[84:85], v[84:85], -v[92:93]
	v_add_f64_e32 v[58:59], v[58:59], v[74:75]
	v_add_f64_e32 v[148:149], v[148:149], v[28:29]
	v_add_f64_e64 v[74:75], v[74:75], -v[64:65]
	v_add_f64_e32 v[150:151], v[208:209], v[150:151]
	v_add_f64_e64 v[208:209], v[32:33], -v[28:29]
	v_add_f64_e32 v[38:39], v[180:181], v[38:39]
	v_add_f64_e32 v[36:37], v[190:191], v[36:37]
	;; [unrolled: 1-line block ×3, first 2 shown]
	v_fma_f64 v[200:201], v[96:97], s[12:13], v[90:91]
	v_fma_f64 v[90:91], v[96:97], s[14:15], v[90:91]
	v_add_f64_e32 v[16:17], v[98:99], v[16:17]
	v_fma_f64 v[98:99], v[88:89], s[14:15], v[52:53]
	v_fma_f64 v[52:53], v[88:89], s[12:13], v[52:53]
	v_add_f64_e32 v[78:79], v[152:153], v[78:79]
	v_fma_f64 v[152:153], v[42:43], s[14:15], v[138:139]
	v_add_f64_e32 v[0:1], v[164:165], v[0:1]
	v_fma_f64 v[164:165], v[46:47], s[12:13], v[140:141]
	v_fma_f64 v[140:141], v[46:47], s[14:15], v[140:141]
	;; [unrolled: 1-line block ×3, first 2 shown]
	s_barrier_signal -1
	v_add_f64_e32 v[166:167], v[176:177], v[166:167]
	v_add_f64_e64 v[176:177], v[20:21], -v[24:25]
	s_barrier_wait -1
	global_inv scope:SCOPE_SE
	v_fma_f64 v[184:185], v[184:185], -0.5, v[204:205]
	v_fma_f64 v[194:195], v[194:195], -0.5, v[204:205]
	v_add_f64_e32 v[204:205], v[204:205], v[106:107]
	v_add_f64_e64 v[106:107], v[106:107], -v[6:7]
	v_add_f64_e32 v[92:93], v[100:101], v[92:93]
	v_add_f64_e64 v[100:101], v[24:25], -v[20:21]
	v_add_f64_e32 v[58:59], v[58:59], v[64:65]
	v_fma_f64 v[64:65], v[30:31], s[12:13], v[94:95]
	v_fma_f64 v[94:95], v[30:31], s[14:15], v[94:95]
	v_add_f64_e32 v[18:19], v[38:39], v[18:19]
	v_fma_f64 v[38:39], v[80:81], s[14:15], v[170:171]
	v_fma_f64 v[170:171], v[80:81], s[12:13], v[170:171]
	v_add_f64_e32 v[10:11], v[76:77], v[10:11]
	v_fma_f64 v[98:99], v[96:97], s[2:3], v[98:99]
	s_wait_alu 0xfffe
	v_fma_f64 v[52:53], v[96:97], s[6:7], v[52:53]
	v_fma_f64 v[96:97], v[60:61], s[14:15], v[172:173]
	;; [unrolled: 1-line block ×3, first 2 shown]
	v_add_f64_e32 v[68:69], v[78:79], v[68:69]
	v_add_f64_e32 v[176:177], v[208:209], v[176:177]
	v_add_f64_e64 v[208:209], v[28:29], -v[32:33]
	v_add_f64_e64 v[32:33], v[32:33], -v[20:21]
	v_fma_f64 v[180:181], v[102:103], s[14:15], v[184:185]
	v_fma_f64 v[184:185], v[102:103], s[12:13], v[184:185]
	v_add_f64_e64 v[28:29], v[28:29], -v[24:25]
	v_add_f64_e32 v[24:25], v[148:149], v[24:25]
	v_fma_f64 v[190:191], v[84:85], s[12:13], v[194:195]
	v_add_f64_e32 v[204:205], v[204:205], v[34:35]
	v_add_f64_e64 v[34:35], v[34:35], -v[40:41]
	v_fma_f64 v[194:195], v[84:85], s[14:15], v[194:195]
	v_fma_f64 v[148:149], v[50:51], s[14:15], v[54:55]
	;; [unrolled: 1-line block ×3, first 2 shown]
	v_add_f64_e32 v[26:27], v[92:93], v[26:27]
	v_fma_f64 v[92:93], v[22:23], s[14:15], v[142:143]
	v_fma_f64 v[142:143], v[22:23], s[12:13], v[142:143]
	;; [unrolled: 1-line block ×4, first 2 shown]
	v_add_f64_e32 v[58:59], v[58:59], v[70:71]
	v_fma_f64 v[38:39], v[72:73], s[6:7], v[38:39]
	s_wait_alu 0xf1ff
	v_fma_f64 v[98:99], v[186:187], s[0:1], v[98:99]
	v_fma_f64 v[52:53], v[186:187], s[0:1], v[52:53]
	;; [unrolled: 1-line block ×3, first 2 shown]
	v_add_f64_e32 v[100:101], v[208:209], v[100:101]
	v_fma_f64 v[208:209], v[106:107], s[12:13], v[66:67]
	v_fma_f64 v[66:67], v[106:107], s[14:15], v[66:67]
	v_add_f64_e32 v[24:25], v[24:25], v[20:21]
	v_add_f64_e32 v[40:41], v[204:205], v[40:41]
	v_fma_f64 v[204:205], v[34:35], s[14:15], v[134:135]
	v_fma_f64 v[134:135], v[34:35], s[12:13], v[134:135]
	;; [unrolled: 1-line block ×12, first 2 shown]
	v_add_f64_e32 v[210:211], v[40:41], v[6:7]
	v_fma_f64 v[204:205], v[106:107], s[2:3], v[204:205]
	v_fma_f64 v[106:107], v[106:107], s[6:7], v[134:135]
	;; [unrolled: 1-line block ×17, first 2 shown]
	v_add_f64_e32 v[200:201], v[36:37], v[14:15]
	v_fma_f64 v[14:15], v[74:75], s[12:13], v[174:175]
	v_fma_f64 v[36:37], v[74:75], s[14:15], v[174:175]
	;; [unrolled: 1-line block ×3, first 2 shown]
	v_add3_u32 v174, v129, v130, v126
	v_fma_f64 v[129:130], v[46:47], s[6:7], v[152:153]
	v_fma_f64 v[46:47], v[46:47], s[2:3], v[138:139]
	;; [unrolled: 1-line block ×36, first 2 shown]
	v_add_f64_e32 v[106:107], v[16:17], v[2:3]
	v_fma_f64 v[131:132], v[132:133], s[0:1], v[44:45]
	v_add_f64_e32 v[136:137], v[0:1], v[4:5]
	v_fma_f64 v[72:73], v[188:189], s[0:1], v[72:73]
	v_fma_f64 v[74:75], v[176:177], s[0:1], v[74:75]
	;; [unrolled: 1-line block ×19, first 2 shown]
	ds_store_2addr_b64 v62, v[26:27], v[60:61] offset1:13
	ds_store_2addr_b64 v62, v[82:83], v[90:91] offset0:26 offset1:39
	ds_store_b64 v62, v[34:35] offset:416
	ds_store_2addr_b64 v212, v[18:19], v[96:97] offset1:13
	ds_store_2addr_b64 v212, v[98:99], v[52:53] offset0:26 offset1:39
	ds_store_b64 v212, v[88:89] offset:416
	;; [unrolled: 3-line block ×5, first 2 shown]
	global_wb scope:SCOPE_SE
	s_wait_dscnt 0x0
	s_barrier_signal -1
	s_barrier_wait -1
	global_inv scope:SCOPE_SE
	ds_load_b64 v[8:9], v108
	ds_load_2addr_b64 v[10:13], v109 offset0:69 offset1:134
	ds_load_2addr_b64 v[14:17], v116 offset0:73 offset1:138
	;; [unrolled: 1-line block ×12, first 2 shown]
	global_wb scope:SCOPE_SE
	s_wait_dscnt 0x0
	s_barrier_signal -1
	s_barrier_wait -1
	global_inv scope:SCOPE_SE
	ds_store_2addr_b64 v62, v[210:211], v[138:139] offset1:13
	ds_store_2addr_b64 v62, v[140:141], v[102:103] offset0:26 offset1:39
	ds_store_b64 v62, v[84:85] offset:416
	ds_store_2addr_b64 v212, v[200:201], v[129:130] offset1:13
	ds_store_2addr_b64 v212, v[134:135], v[144:145] offset0:26 offset1:39
	ds_store_b64 v212, v[142:143] offset:416
	;; [unrolled: 3-line block ×5, first 2 shown]
	global_wb scope:SCOPE_SE
	s_wait_dscnt 0x0
	s_barrier_signal -1
	s_barrier_wait -1
	global_inv scope:SCOPE_SE
	global_load_b128 v[22:25], v[48:49], off offset:832
	v_mul_lo_u16 v26, 0x41, v215
	v_mul_u32_u24_e32 v31, 0xfc1, v127
	v_mul_u32_u24_e32 v33, 0xfc1, v128
	s_delay_alu instid0(VALU_DEP_3) | instskip(SKIP_4) | instid1(VALU_DEP_3)
	v_sub_nc_u16 v30, v114, v26
	global_load_b128 v[26:29], v[48:49], off offset:864
	v_lshrrev_b32_e32 v31, 18, v31
	v_lshrrev_b32_e32 v33, 18, v33
	v_and_b32_e32 v32, 0xff, v30
	v_mul_lo_u16 v31, 0x41, v31
	s_delay_alu instid0(VALU_DEP_3) | instskip(NEXT) | instid1(VALU_DEP_3)
	v_mul_lo_u16 v34, 0x41, v33
	v_lshlrev_b32_e32 v30, 6, v32
	s_clause 0x4
	global_load_b128 v[68:71], v[48:49], off offset:848
	global_load_b128 v[72:75], v30, s[4:5] offset:848
	global_load_b128 v[76:79], v[48:49], off offset:880
	global_load_b128 v[80:83], v30, s[4:5] offset:832
	global_load_b128 v[84:87], v30, s[4:5] offset:864
	v_sub_nc_u16 v31, v115, v31
	v_lshlrev_b32_e32 v32, 3, v32
	s_delay_alu instid0(VALU_DEP_2) | instskip(SKIP_1) | instid1(VALU_DEP_3)
	v_and_b32_e32 v33, 0xffff, v31
	v_sub_nc_u16 v31, v113, v34
	v_add3_u32 v62, 0, v32, v126
	s_delay_alu instid0(VALU_DEP_3) | instskip(NEXT) | instid1(VALU_DEP_3)
	v_lshlrev_b32_e32 v47, 6, v33
	v_and_b32_e32 v34, 0xffff, v31
	s_clause 0x3
	global_load_b128 v[88:91], v30, s[4:5] offset:880
	global_load_b128 v[92:95], v47, s[4:5] offset:832
	;; [unrolled: 1-line block ×4, first 2 shown]
	v_lshlrev_b32_e32 v30, 6, v34
	s_clause 0x4
	global_load_b128 v[127:130], v47, s[4:5] offset:880
	global_load_b128 v[131:134], v30, s[4:5] offset:832
	;; [unrolled: 1-line block ×5, first 2 shown]
	ds_load_2addr_b64 v[147:150], v109 offset0:69 offset1:134
	ds_load_2addr_b64 v[151:154], v117 offset0:79 offset1:144
	;; [unrolled: 1-line block ×9, first 2 shown]
	v_lshlrev_b32_e32 v33, 3, v33
	v_lshlrev_b32_e32 v34, 3, v34
	v_add_nc_u32_e32 v216, 0x1800, v62
	s_delay_alu instid0(VALU_DEP_3) | instskip(NEXT) | instid1(VALU_DEP_1)
	v_add3_u32 v215, 0, v33, v126
	v_add_nc_u32_e32 v217, 0x1c00, v215
	s_wait_loadcnt_dscnt 0xf08
	v_mul_f64_e32 v[106:107], v[149:150], v[24:25]
	v_mul_f64_e32 v[30:31], v[147:148], v[24:25]
	;; [unrolled: 1-line block ×4, first 2 shown]
	s_wait_loadcnt_dscnt 0xe07
	v_mul_f64_e32 v[185:186], v[151:152], v[28:29]
	v_mul_f64_e32 v[187:188], v[153:154], v[28:29]
	;; [unrolled: 1-line block ×4, first 2 shown]
	s_wait_loadcnt_dscnt 0xd06
	v_mul_f64_e32 v[193:194], v[155:156], v[70:71]
	s_wait_loadcnt 0xc
	v_mul_f64_e32 v[195:196], v[157:158], v[74:75]
	v_mul_f64_e32 v[74:75], v[41:42], v[74:75]
	;; [unrolled: 1-line block ×3, first 2 shown]
	s_wait_dscnt 0x5
	v_mul_f64_e32 v[199:200], v[161:162], v[70:71]
	v_mul_f64_e32 v[70:71], v[16:17], v[70:71]
	s_wait_loadcnt_dscnt 0xb04
	v_mul_f64_e32 v[201:202], v[165:166], v[78:79]
	v_mul_f64_e32 v[203:204], v[37:38], v[78:79]
	s_wait_dscnt 0x3
	v_mul_f64_e32 v[205:206], v[167:168], v[78:79]
	v_mul_f64_e32 v[78:79], v[43:44], v[78:79]
	v_fma_f64 v[106:107], v[12:13], v[22:23], v[106:107]
	s_wait_loadcnt_dscnt 0xa02
	v_mul_f64_e32 v[12:13], v[171:172], v[82:83]
	v_mul_f64_e32 v[82:83], v[50:51], v[82:83]
	v_fma_f64 v[183:184], v[147:148], v[22:23], -v[183:184]
	v_fma_f64 v[209:210], v[149:150], v[22:23], -v[24:25]
	ds_load_2addr_b64 v[147:150], v125 offset0:87 offset1:152
	v_fma_f64 v[207:208], v[10:11], v[22:23], v[30:31]
	s_wait_loadcnt_dscnt 0x902
	v_mul_f64_e32 v[22:23], v[175:176], v[86:87]
	v_mul_f64_e32 v[86:87], v[54:55], v[86:87]
	v_fma_f64 v[185:186], v[18:19], v[26:27], v[185:186]
	v_fma_f64 v[24:25], v[20:21], v[26:27], v[187:188]
	s_wait_loadcnt 0x8
	v_mul_f64_e32 v[18:19], v[169:170], v[90:91]
	v_mul_f64_e32 v[20:21], v[45:46], v[90:91]
	v_fma_f64 v[28:29], v[151:152], v[26:27], -v[189:190]
	v_fma_f64 v[26:27], v[153:154], v[26:27], -v[191:192]
	s_wait_loadcnt 0x7
	v_mul_f64_e32 v[90:91], v[173:174], v[94:95]
	v_mul_f64_e32 v[94:95], v[52:53], v[94:95]
	s_wait_loadcnt_dscnt 0x601
	v_mul_f64_e32 v[151:152], v[179:180], v[98:99]
	v_mul_f64_e32 v[98:99], v[58:59], v[98:99]
	v_fma_f64 v[153:154], v[39:40], v[68:69], v[193:194]
	v_fma_f64 v[187:188], v[41:42], v[72:73], v[195:196]
	s_wait_loadcnt 0x5
	v_mul_f64_e32 v[39:40], v[177:178], v[102:103]
	v_mul_f64_e32 v[41:42], v[56:57], v[102:103]
	v_fma_f64 v[72:73], v[157:158], v[72:73], -v[74:75]
	s_wait_loadcnt 0x4
	v_mul_f64_e32 v[102:103], v[64:65], v[129:130]
	s_wait_dscnt 0x0
	v_mul_f64_e32 v[74:75], v[147:148], v[129:130]
	v_fma_f64 v[129:130], v[155:156], v[68:69], -v[197:198]
	s_wait_loadcnt 0x3
	v_mul_f64_e32 v[155:156], v[159:160], v[133:134]
	s_wait_loadcnt 0x2
	v_mul_f64_e32 v[157:158], v[181:182], v[137:138]
	v_fma_f64 v[189:190], v[16:17], v[68:69], v[199:200]
	v_fma_f64 v[68:69], v[161:162], v[68:69], -v[70:71]
	s_wait_loadcnt 0x1
	v_mul_f64_e32 v[16:17], v[163:164], v[141:142]
	s_wait_loadcnt 0x0
	v_mul_f64_e32 v[70:71], v[149:150], v[145:146]
	v_fma_f64 v[161:162], v[37:38], v[76:77], v[201:202]
	v_fma_f64 v[165:166], v[165:166], v[76:77], -v[203:204]
	v_fma_f64 v[30:31], v[43:44], v[76:77], v[205:206]
	v_fma_f64 v[10:11], v[167:168], v[76:77], -v[78:79]
	v_mul_f64_e32 v[37:38], v[14:15], v[133:134]
	v_mul_f64_e32 v[43:44], v[60:61], v[137:138]
	v_fma_f64 v[50:51], v[50:51], v[80:81], v[12:13]
	v_fma_f64 v[76:77], v[171:172], v[80:81], -v[82:83]
	v_mul_f64_e32 v[78:79], v[35:36], v[141:142]
	v_mul_f64_e32 v[80:81], v[66:67], v[145:146]
	v_fma_f64 v[54:55], v[54:55], v[84:85], v[22:23]
	v_fma_f64 v[18:19], v[45:46], v[88:89], v[18:19]
	v_fma_f64 v[45:46], v[175:176], v[84:85], -v[86:87]
	v_fma_f64 v[12:13], v[169:170], v[88:89], -v[20:21]
	v_fma_f64 v[52:53], v[52:53], v[92:93], v[90:91]
	v_fma_f64 v[82:83], v[173:174], v[92:93], -v[94:95]
	v_fma_f64 v[58:59], v[58:59], v[96:97], v[151:152]
	v_fma_f64 v[84:85], v[179:180], v[96:97], -v[98:99]
	v_add_f64_e32 v[96:97], v[153:154], v[24:25]
	v_add_f64_e64 v[175:176], v[106:107], -v[153:154]
	v_fma_f64 v[56:57], v[56:57], v[100:101], v[39:40]
	v_add_f64_e32 v[173:174], v[4:5], v[106:107]
	v_add_f64_e64 v[179:180], v[153:154], -v[106:107]
	v_fma_f64 v[22:23], v[64:65], v[127:128], v[74:75]
	v_add_f64_e32 v[133:134], v[129:130], v[26:27]
	v_fma_f64 v[64:65], v[14:15], v[131:132], v[155:156]
	v_fma_f64 v[60:61], v[60:61], v[135:136], v[157:158]
	v_fma_f64 v[14:15], v[147:148], v[127:128], -v[102:103]
	v_add_f64_e32 v[86:87], v[189:190], v[185:186]
	v_fma_f64 v[74:75], v[35:36], v[139:140], v[16:17]
	v_fma_f64 v[20:21], v[66:67], v[143:144], v[70:71]
	v_fma_f64 v[66:67], v[177:178], v[100:101], -v[41:42]
	v_add_f64_e64 v[88:89], v[207:208], -v[189:190]
	v_add_f64_e32 v[98:99], v[106:107], v[30:31]
	v_add_f64_e64 v[90:91], v[161:162], -v[185:186]
	v_fma_f64 v[70:71], v[159:160], v[131:132], -v[37:38]
	v_fma_f64 v[43:44], v[181:182], v[135:136], -v[43:44]
	v_add_f64_e32 v[135:136], v[209:210], v[10:11]
	v_add_f64_e32 v[92:93], v[207:208], v[161:162]
	v_fma_f64 v[78:79], v[163:164], v[139:140], -v[78:79]
	v_fma_f64 v[16:17], v[149:150], v[143:144], -v[80:81]
	v_add_f64_e64 v[94:95], v[189:190], -v[207:208]
	v_add_f64_e64 v[127:128], v[185:186], -v[161:162]
	v_add_f64_e32 v[100:101], v[187:188], v[54:55]
	v_add_f64_e32 v[131:132], v[68:69], v[28:29]
	v_add_f64_e64 v[141:142], v[183:184], -v[68:69]
	v_add_f64_e64 v[143:144], v[165:166], -v[28:29]
	v_add_f64_e32 v[102:103], v[50:51], v[18:19]
	v_add_f64_e32 v[137:138], v[72:73], v[45:46]
	;; [unrolled: 1-line block ×4, first 2 shown]
	v_add_f64_e64 v[157:158], v[68:69], -v[183:184]
	v_add_f64_e64 v[171:172], v[28:29], -v[165:166]
	;; [unrolled: 1-line block ×3, first 2 shown]
	ds_load_b64 v[80:81], v108
	ds_load_2addr_b64 v[35:38], v111 offset0:65 offset1:130
	ds_load_2addr_b64 v[39:42], v123 offset0:67 offset1:132
	v_fma_f64 v[96:97], v[96:97], -0.5, v[4:5]
	v_add_f64_e64 v[181:182], v[24:25], -v[30:31]
	v_add_f64_e32 v[145:146], v[58:59], v[56:57]
	v_add_f64_e64 v[193:194], v[209:210], -v[129:130]
	v_add_f64_e64 v[195:196], v[10:11], -v[26:27]
	;; [unrolled: 1-line block ×3, first 2 shown]
	v_add_f64_e32 v[147:148], v[52:53], v[22:23]
	v_add_f64_e64 v[199:200], v[26:27], -v[10:11]
	v_add_f64_e32 v[201:202], v[6:7], v[50:51]
	v_add_f64_e64 v[203:204], v[50:51], -v[187:188]
	;; [unrolled: 2-line block ×3, first 2 shown]
	v_add_f64_e32 v[149:150], v[60:61], v[74:75]
	v_add_f64_e32 v[151:152], v[64:65], v[20:21]
	;; [unrolled: 1-line block ×3, first 2 shown]
	v_add_f64_e64 v[211:212], v[187:188], -v[50:51]
	v_fma_f64 v[4:5], v[98:99], -0.5, v[4:5]
	v_add_f64_e64 v[213:214], v[54:55], -v[18:19]
	s_wait_dscnt 0x1
	v_add_f64_e32 v[191:192], v[35:36], v[209:210]
	v_fma_f64 v[133:134], v[133:134], -0.5, v[35:36]
	v_fma_f64 v[35:36], v[135:136], -0.5, v[35:36]
	v_add_f64_e32 v[88:89], v[88:89], v[90:91]
	v_add_f64_e32 v[167:168], v[43:44], v[78:79]
	;; [unrolled: 1-line block ×4, first 2 shown]
	v_fma_f64 v[86:87], v[86:87], -0.5, v[8:9]
	v_fma_f64 v[98:99], v[100:101], -0.5, v[6:7]
	v_add_f64_e32 v[100:101], v[37:38], v[76:77]
	v_add_f64_e32 v[94:95], v[94:95], v[127:128]
	v_add_f64_e64 v[127:128], v[45:46], -v[12:13]
	v_fma_f64 v[6:7], v[102:103], -0.5, v[6:7]
	v_fma_f64 v[135:136], v[137:138], -0.5, v[37:38]
	;; [unrolled: 1-line block ×3, first 2 shown]
	v_add_f64_e32 v[139:140], v[0:1], v[52:53]
	v_add_f64_e64 v[102:103], v[76:77], -v[72:73]
	v_add_f64_e64 v[137:138], v[12:13], -v[45:46]
	v_add_f64_e32 v[141:142], v[141:142], v[143:144]
	v_add_f64_e64 v[143:144], v[52:53], -v[58:59]
	v_fma_f64 v[131:132], v[131:132], -0.5, v[80:81]
	v_fma_f64 v[80:81], v[155:156], -0.5, v[80:81]
	;; [unrolled: 1-line block ×3, first 2 shown]
	v_add_f64_e64 v[155:156], v[22:23], -v[56:57]
	v_add_f64_e32 v[157:158], v[157:158], v[171:172]
	v_add_f64_e64 v[171:172], v[58:59], -v[52:53]
	v_fma_f64 v[0:1], v[147:148], -0.5, v[0:1]
	v_add_f64_e32 v[175:176], v[175:176], v[177:178]
	v_add_f64_e64 v[177:178], v[56:57], -v[22:23]
	v_add_f64_e32 v[179:180], v[179:180], v[181:182]
	v_add_f64_e64 v[181:182], v[82:83], -v[84:85]
	v_add_f64_e32 v[193:194], v[193:194], v[195:196]
	v_fma_f64 v[147:148], v[149:150], -0.5, v[2:3]
	v_fma_f64 v[149:150], v[151:152], -0.5, v[2:3]
	s_wait_dscnt 0x0
	v_add_f64_e32 v[151:152], v[39:40], v[82:83]
	v_fma_f64 v[159:160], v[159:160], -0.5, v[39:40]
	v_fma_f64 v[39:40], v[163:164], -0.5, v[39:40]
	v_add_f64_e64 v[195:196], v[14:15], -v[66:67]
	v_add_f64_e32 v[197:198], v[197:198], v[199:200]
	v_add_f64_e64 v[199:200], v[84:85], -v[82:83]
	v_add_f64_e32 v[203:204], v[203:204], v[205:206]
	v_add_f64_e64 v[205:206], v[66:67], -v[14:15]
	v_fma_f64 v[163:164], v[167:168], -0.5, v[41:42]
	v_fma_f64 v[167:168], v[169:170], -0.5, v[41:42]
	v_add_f64_e32 v[169:170], v[8:9], v[207:208]
	v_fma_f64 v[8:9], v[92:93], -0.5, v[8:9]
	v_add_f64_e64 v[92:93], v[72:73], -v[76:77]
	v_add_f64_e32 v[41:42], v[41:42], v[70:71]
	v_add_f64_e32 v[211:212], v[211:212], v[213:214]
	v_add_f64_e64 v[213:214], v[64:65], -v[60:61]
	v_add_f64_e64 v[32:33], v[183:184], -v[165:166]
	v_add_f64_e32 v[90:91], v[90:91], v[68:69]
	v_add_f64_e64 v[68:69], v[68:69], -v[28:29]
	v_add_f64_e64 v[183:184], v[16:17], -v[78:79]
	v_add_f64_e32 v[2:3], v[2:3], v[64:65]
	v_add_f64_e32 v[102:103], v[102:103], v[137:138]
	v_add_f64_e64 v[137:138], v[20:21], -v[74:75]
	v_add_f64_e64 v[207:208], v[207:208], -v[161:162]
	;; [unrolled: 1-line block ×3, first 2 shown]
	v_add_f64_e32 v[173:174], v[173:174], v[153:154]
	v_add_f64_e64 v[76:77], v[76:77], -v[12:13]
	v_add_f64_e32 v[143:144], v[143:144], v[155:156]
	v_add_f64_e64 v[155:156], v[74:75], -v[20:21]
	v_add_f64_e32 v[139:140], v[139:140], v[58:59]
	v_add_f64_e32 v[100:101], v[100:101], v[72:73]
	v_add_f64_e64 v[72:73], v[72:73], -v[45:46]
	v_add_f64_e32 v[171:172], v[171:172], v[177:178]
	v_add_f64_e64 v[177:178], v[70:71], -v[43:44]
	v_add_f64_e64 v[82:83], v[82:83], -v[14:15]
	;; [unrolled: 1-line block ×5, first 2 shown]
	v_add_f64_e32 v[151:152], v[151:152], v[84:85]
	v_add_f64_e64 v[84:85], v[84:85], -v[66:67]
	v_add_f64_e64 v[52:53], v[52:53], -v[22:23]
	v_add_f64_e32 v[181:182], v[181:182], v[195:196]
	v_add_f64_e64 v[58:59], v[58:59], -v[56:57]
	global_wb scope:SCOPE_SE
	s_barrier_signal -1
	v_add_f64_e32 v[195:196], v[199:200], v[205:206]
	v_add_f64_e64 v[199:200], v[43:44], -v[70:71]
	v_add_f64_e64 v[70:71], v[70:71], -v[16:17]
	v_add_f64_e32 v[169:170], v[169:170], v[189:190]
	v_add_f64_e64 v[189:190], v[189:190], -v[185:186]
	v_add_f64_e32 v[92:93], v[92:93], v[127:128]
	;; [unrolled: 2-line block ×3, first 2 shown]
	v_add_f64_e64 v[43:44], v[43:44], -v[78:79]
	v_add_f64_e64 v[205:206], v[78:79], -v[16:17]
	v_add_f64_e32 v[28:29], v[90:91], v[28:29]
	v_add_f64_e64 v[64:65], v[64:65], -v[20:21]
	s_barrier_wait -1
	v_add_f64_e32 v[2:3], v[2:3], v[60:61]
	v_add_f64_e64 v[60:61], v[60:61], -v[74:75]
	v_add_f64_e32 v[137:138], v[213:214], v[137:138]
	v_add3_u32 v213, 0, v34, v126
	v_fma_f64 v[90:91], v[207:208], s[14:15], v[131:132]
	v_fma_f64 v[131:132], v[207:208], s[12:13], v[131:132]
	v_add_f64_e32 v[24:25], v[173:174], v[24:25]
	v_fma_f64 v[173:174], v[209:210], s[12:13], v[96:97]
	v_fma_f64 v[96:97], v[209:210], s[14:15], v[96:97]
	v_add_f64_e32 v[56:57], v[139:140], v[56:57]
	;; [unrolled: 3-line block ×3, first 2 shown]
	v_add_f64_e32 v[177:178], v[177:178], v[183:184]
	v_fma_f64 v[183:184], v[68:69], s[14:15], v[8:9]
	v_fma_f64 v[8:9], v[68:69], s[12:13], v[8:9]
	;; [unrolled: 1-line block ×4, first 2 shown]
	v_add_f64_e32 v[66:67], v[151:152], v[66:67]
	v_fma_f64 v[151:152], v[72:73], s[14:15], v[6:7]
	v_fma_f64 v[6:7], v[72:73], s[12:13], v[6:7]
	v_add_nc_u32_e32 v214, 0x1000, v62
	global_inv scope:SCOPE_SE
	v_add_f64_e32 v[169:170], v[169:170], v[185:186]
	v_add_f64_e32 v[185:186], v[191:192], v[129:130]
	v_add_f64_e64 v[129:130], v[129:130], -v[26:27]
	v_add_f64_e32 v[126:127], v[127:128], v[155:156]
	v_fma_f64 v[155:156], v[32:33], s[12:13], v[86:87]
	v_fma_f64 v[86:87], v[32:33], s[14:15], v[86:87]
	v_add_f64_e32 v[191:192], v[201:202], v[187:188]
	v_add_f64_e64 v[187:188], v[187:188], -v[54:55]
	v_add_f64_e32 v[41:42], v[41:42], v[78:79]
	v_fma_f64 v[78:79], v[82:83], s[12:13], v[145:146]
	v_fma_f64 v[145:146], v[82:83], s[14:15], v[145:146]
	;; [unrolled: 1-line block ×4, first 2 shown]
	v_add_f64_e32 v[2:3], v[2:3], v[74:75]
	v_fma_f64 v[74:75], v[50:51], s[14:15], v[135:136]
	v_fma_f64 v[135:136], v[50:51], s[12:13], v[135:136]
	v_add_f64_e32 v[165:166], v[28:29], v[165:166]
	v_add_f64_e32 v[199:200], v[199:200], v[205:206]
	v_fma_f64 v[90:91], v[189:190], s[6:7], v[90:91]
	v_fma_f64 v[131:132], v[189:190], s[2:3], v[131:132]
	;; [unrolled: 1-line block ×5, first 2 shown]
	v_add_f64_e32 v[24:25], v[24:25], v[30:31]
	v_fma_f64 v[183:184], v[32:33], s[2:3], v[183:184]
	v_fma_f64 v[8:9], v[32:33], s[6:7], v[8:9]
	;; [unrolled: 1-line block ×12, first 2 shown]
	v_add_f64_e32 v[22:23], v[56:57], v[22:23]
	v_add_f64_e32 v[66:67], v[66:67], v[14:15]
	;; [unrolled: 1-line block ×4, first 2 shown]
	v_fma_f64 v[185:186], v[129:130], s[14:15], v[4:5]
	v_fma_f64 v[4:5], v[129:130], s[12:13], v[4:5]
	;; [unrolled: 1-line block ×8, first 2 shown]
	v_add_f64_e32 v[54:55], v[191:192], v[54:55]
	v_fma_f64 v[191:192], v[106:107], s[14:15], v[133:134]
	v_fma_f64 v[133:134], v[106:107], s[12:13], v[133:134]
	;; [unrolled: 1-line block ×14, first 2 shown]
	v_add_f64_e32 v[2:3], v[2:3], v[20:21]
	v_fma_f64 v[32:33], v[70:71], s[2:3], v[32:33]
	v_fma_f64 v[70:71], v[70:71], s[6:7], v[149:150]
	;; [unrolled: 1-line block ×12, first 2 shown]
	v_add_nc_u32_e32 v207, 0x2000, v215
	v_add_nc_u32_e32 v208, 0x2800, v213
	v_fma_f64 v[185:186], v[209:210], s[2:3], v[185:186]
	v_fma_f64 v[4:5], v[209:210], s[6:7], v[4:5]
	;; [unrolled: 1-line block ×7, first 2 shown]
	v_add_f64_e32 v[18:19], v[54:55], v[18:19]
	v_fma_f64 v[191:192], v[153:154], s[6:7], v[191:192]
	v_fma_f64 v[86:87], v[153:154], s[2:3], v[133:134]
	;; [unrolled: 1-line block ×21, first 2 shown]
	v_add_f64_e32 v[126:127], v[26:27], v[10:11]
	v_add_f64_e32 v[133:134], v[45:46], v[12:13]
	;; [unrolled: 1-line block ×3, first 2 shown]
	v_fma_f64 v[145:146], v[177:178], s[0:1], v[20:21]
	v_fma_f64 v[147:148], v[177:178], s[0:1], v[30:31]
	;; [unrolled: 1-line block ×17, first 2 shown]
	ds_store_2addr_b64 v111, v[161:162], v[64:65] offset1:65
	ds_store_2addr_b64 v111, v[88:89], v[8:9] offset0:130 offset1:195
	ds_store_2addr_b64 v109, v[68:69], v[24:25] offset0:4 offset1:69
	;; [unrolled: 1-line block ×10, first 2 shown]
	ds_store_b64 v62, v[72:73] offset:7280
	ds_store_b64 v215, v[84:85] offset:9880
	;; [unrolled: 1-line block ×3, first 2 shown]
	v_fma_f64 v[143:144], v[195:196], s[0:1], v[38:39]
	global_wb scope:SCOPE_SE
	s_wait_dscnt 0x0
	s_barrier_signal -1
	s_barrier_wait -1
	global_inv scope:SCOPE_SE
	ds_load_b64 v[106:107], v108
	ds_load_2addr_b64 v[8:11], v109 offset0:69 offset1:134
	ds_load_2addr_b64 v[40:43], v116 offset0:73 offset1:138
	;; [unrolled: 1-line block ×12, first 2 shown]
	v_fma_f64 v[58:59], v[195:196], s[0:1], v[58:59]
	v_fma_f64 v[52:53], v[199:200], s[0:1], v[52:53]
	;; [unrolled: 1-line block ×3, first 2 shown]
	global_wb scope:SCOPE_SE
	s_wait_dscnt 0x0
	s_barrier_signal -1
	s_barrier_wait -1
	global_inv scope:SCOPE_SE
	ds_store_2addr_b64 v111, v[165:166], v[90:91] offset1:65
	ds_store_2addr_b64 v111, v[137:138], v[80:81] offset0:130 offset1:195
	ds_store_2addr_b64 v109, v[130:131], v[126:127] offset0:4 offset1:69
	;; [unrolled: 1-line block ×10, first 2 shown]
	ds_store_b64 v62, v[74:75] offset:7280
	ds_store_b64 v215, v[56:57] offset:9880
	;; [unrolled: 1-line block ×3, first 2 shown]
	global_wb scope:SCOPE_SE
	s_wait_dscnt 0x0
	s_barrier_signal -1
	s_barrier_wait -1
	global_inv scope:SCOPE_SE
	s_and_saveexec_b32 s16, vcc_lo
	s_cbranch_execz .LBB0_19
; %bb.18:
	global_load_b128 v[116:119], v[48:49], off offset:5040
	v_mad_co_u64_u32 v[176:177], null, s8, v112, 0
	v_lshlrev_b32_e32 v62, 2, v113
	v_add_nc_u32_e32 v198, 0x3cf, v110
	v_add_nc_u32_e32 v200, 0x186, v110
	;; [unrolled: 1-line block ×3, first 2 shown]
	v_mad_co_u64_u32 v[172:173], null, s8, v110, 0
	v_lshlrev_b64_e32 v[50:51], 4, v[62:63]
	v_mad_co_u64_u32 v[184:185], null, s8, v198, 0
	v_lshlrev_b32_e32 v62, 2, v115
	v_mad_co_u64_u32 v[188:189], null, s8, v200, 0
	s_delay_alu instid0(VALU_DEP_4)
	v_add_co_u32 v50, vcc_lo, s4, v50
	s_wait_alu 0xfffd
	v_add_co_ci_u32_e32 v51, vcc_lo, s5, v51, vcc_lo
	s_clause 0x3
	global_load_b128 v[120:123], v[50:51], off offset:5024
	global_load_b128 v[124:127], v[48:49], off offset:5008
	;; [unrolled: 1-line block ×4, first 2 shown]
	v_lshlrev_b64_e32 v[52:53], 4, v[62:63]
	global_load_b128 v[136:139], v[50:51], off offset:5008
	v_add_nc_u32_e32 v199, 0x514, v110
	v_mad_co_u64_u32 v[194:195], null, s8, v207, 0
	v_add_nc_u32_e32 v109, 0x2400, v111
	v_add_co_u32 v52, vcc_lo, s4, v52
	s_wait_alu 0xfffd
	v_add_co_ci_u32_e32 v53, vcc_lo, s5, v53, vcc_lo
	s_clause 0x2
	global_load_b128 v[100:103], v[52:53], off offset:5008
	global_load_b128 v[96:99], v[50:51], off offset:5040
	;; [unrolled: 1-line block ×3, first 2 shown]
	v_mad_co_u64_u32 v[186:187], null, s8, v199, 0
	v_lshlrev_b32_e32 v62, 2, v114
	s_clause 0x1
	global_load_b128 v[88:91], v[48:49], off offset:5024
	global_load_b128 v[84:87], v[52:53], off offset:5024
	v_add_nc_u32_e32 v196, 0x145, v110
	v_add_nc_u32_e32 v197, 0x28a, v110
	;; [unrolled: 1-line block ×3, first 2 shown]
	v_lshlrev_b64_e32 v[50:51], 4, v[62:63]
	v_lshlrev_b32_e32 v62, 2, v112
	v_mad_co_u64_u32 v[180:181], null, s8, v196, 0
	v_mad_co_u64_u32 v[182:183], null, s8, v197, 0
	s_delay_alu instid0(VALU_DEP_4)
	v_add_co_u32 v54, vcc_lo, s4, v50
	s_wait_alu 0xfffd
	v_add_co_ci_u32_e32 v55, vcc_lo, s5, v51, vcc_lo
	s_clause 0x2
	global_load_b128 v[80:83], v[52:53], off offset:4992
	global_load_b128 v[48:51], v[54:55], off offset:4992
	;; [unrolled: 1-line block ×3, first 2 shown]
	v_lshlrev_b64_e32 v[52:53], 4, v[62:63]
	s_clause 0x1
	global_load_b128 v[76:79], v[54:55], off offset:5008
	global_load_b128 v[72:75], v[54:55], off offset:5040
	v_add_nc_u32_e32 v205, 0x2800, v111
	v_add_nc_u32_e32 v203, 0x410, v110
	v_mul_hi_u32 v202, 0xc9a633fd, v114
	v_mul_hi_u32 v204, 0xc9a633fd, v115
	v_add_co_u32 v60, vcc_lo, s4, v52
	s_wait_alu 0xfffd
	v_add_co_ci_u32_e32 v61, vcc_lo, s5, v53, vcc_lo
	s_clause 0x3
	global_load_b128 v[64:67], v[60:61], off offset:5008
	global_load_b128 v[52:55], v[60:61], off offset:4992
	;; [unrolled: 1-line block ×4, first 2 shown]
	ds_load_2addr_b64 v[140:143], v109 offset0:83 offset1:148
	ds_load_b64 v[108:109], v108
	v_mad_co_u64_u32 v[190:191], null, s8, v201, 0
	v_mad_co_u64_u32 v[192:193], null, s8, v203, 0
	v_add_co_u32 v104, vcc_lo, s10, v104
	s_wait_alu 0xfffd
	v_add_co_ci_u32_e32 v105, vcc_lo, s11, v105, vcc_lo
	s_wait_loadcnt 0x13
	v_mul_f64_e32 v[174:175], v[46:47], v[118:119]
	s_wait_dscnt 0x1
	v_mul_f64_e32 v[118:119], v[142:143], v[118:119]
	s_wait_loadcnt 0x12
	v_mul_f64_e32 v[178:179], v[44:45], v[122:123]
	v_mul_f64_e32 v[122:123], v[140:141], v[122:123]
	s_delay_alu instid0(VALU_DEP_4) | instskip(NEXT) | instid1(VALU_DEP_4)
	v_fma_f64 v[142:143], v[142:143], v[116:117], -v[174:175]
	v_fma_f64 v[46:47], v[46:47], v[116:117], v[118:119]
	v_dual_mov_b32 v116, v173 :: v_dual_mov_b32 v117, v177
	v_lshrrev_b32_e32 v173, 8, v202
	v_lshrrev_b32_e32 v177, 8, v204
	s_wait_loadcnt 0x11
	v_mul_f64_e32 v[174:175], v[42:43], v[126:127]
	v_mad_co_u64_u32 v[118:119], null, s9, v110, v[116:117]
	v_mov_b32_e32 v110, v181
	v_dual_mov_b32 v116, v183 :: v_dual_mov_b32 v119, v187
	v_add_nc_u32_e32 v144, 0x1800, v111
	v_mad_u32_u24 v208, 0x514, v173, v114
	v_dual_mov_b32 v114, v191 :: v_dual_mov_b32 v173, v118
	v_fma_f64 v[140:141], v[140:141], v[120:121], -v[178:179]
	v_fma_f64 v[122:123], v[44:45], v[120:121], v[122:123]
	v_mad_co_u64_u32 v[120:121], null, s9, v112, v[117:118]
	v_dual_mov_b32 v45, v185 :: v_dual_mov_b32 v112, v189
	v_mad_co_u64_u32 v[178:179], null, s9, v196, v[110:111]
	v_mad_co_u64_u32 v[196:197], null, s9, v197, v[116:117]
	v_add_nc_u32_e32 v148, 0x1000, v111
	v_add_nc_u32_e32 v152, 0x2c00, v111
	;; [unrolled: 1-line block ×3, first 2 shown]
	v_mad_u32_u24 v44, 0x514, v177, v115
	v_mov_b32_e32 v177, v120
	v_mov_b32_e32 v181, v178
	v_dual_mov_b32 v183, v196 :: v_dual_mov_b32 v110, v193
	v_mad_co_u64_u32 v[178:179], null, s8, v208, 0
	v_mad_co_u64_u32 v[197:198], null, s9, v198, v[45:46]
	;; [unrolled: 1-line block ×4, first 2 shown]
	v_add_nc_u32_e32 v160, 0x2000, v111
	v_add_nc_u32_e32 v164, 0x1400, v111
	v_dual_mov_b32 v185, v197 :: v_dual_add_nc_u32 v168, 0x800, v111
	v_mov_b32_e32 v187, v198
	v_mad_co_u64_u32 v[200:201], null, s9, v201, v[114:115]
	v_mov_b32_e32 v189, v199
	ds_load_2addr_b64 v[144:147], v144 offset0:77 offset1:142
	ds_load_2addr_b64 v[148:151], v148 offset0:73 offset1:138
	;; [unrolled: 1-line block ×7, first 2 shown]
	s_wait_loadcnt 0x10
	v_mul_f64_e32 v[201:202], v[40:41], v[130:131]
	v_dual_mov_b32 v45, v195 :: v_dual_add_nc_u32 v112, 0x145, v208
	v_mad_co_u64_u32 v[203:204], null, s9, v203, v[110:111]
	v_dual_mov_b32 v191, v200 :: v_dual_add_nc_u32 v206, 0x1c00, v111
	ds_load_2addr_b64 v[114:117], v205 offset0:85 offset1:150
	v_lshlrev_b64_e32 v[172:173], 4, v[172:173]
	v_lshlrev_b64_e32 v[176:177], 4, v[176:177]
	ds_load_2addr_b64 v[118:121], v206 offset0:79 offset1:144
	v_mov_b32_e32 v193, v203
	s_wait_dscnt 0x7
	v_mul_f64_e32 v[126:127], v[150:151], v[126:127]
	v_mul_f64_e32 v[130:131], v[148:149], v[130:131]
	v_fma_f64 v[150:151], v[150:151], v[124:125], -v[174:175]
	v_add_co_u32 v172, vcc_lo, v104, v172
	s_wait_alu 0xfffd
	v_add_co_ci_u32_e32 v173, vcc_lo, v105, v173, vcc_lo
	v_fma_f64 v[148:149], v[148:149], v[128:129], -v[201:202]
	s_wait_loadcnt 0xe
	v_mul_f64_e32 v[200:201], v[38:39], v[138:139]
	v_fma_f64 v[42:43], v[42:43], v[124:125], v[126:127]
	s_wait_dscnt 0x2
	v_mul_f64_e32 v[126:127], v[168:169], v[134:135]
	v_mul_f64_e32 v[124:125], v[8:9], v[134:135]
	v_mad_co_u64_u32 v[134:135], null, s8, v112, 0
	v_fma_f64 v[40:41], v[40:41], v[128:129], v[130:131]
	v_mul_f64_e32 v[128:129], v[146:147], v[138:139]
	v_lshlrev_b64_e32 v[130:131], 4, v[180:181]
	v_lshlrev_b64_e32 v[138:139], 4, v[182:183]
	v_lshlrev_b64_e32 v[181:182], 4, v[186:187]
	v_mov_b32_e32 v110, v135
	v_mad_co_u64_u32 v[204:205], null, s9, v207, v[45:46]
	v_mov_b32_e32 v45, v179
	v_lshlrev_b64_e32 v[179:180], 4, v[184:185]
	v_lshlrev_b64_e32 v[183:184], 4, v[188:189]
	s_wait_loadcnt 0xd
	v_mul_f64_e32 v[187:188], v[36:37], v[102:103]
	v_mul_f64_e32 v[102:103], v[144:145], v[102:103]
	v_lshlrev_b64_e32 v[185:186], 4, v[190:191]
	v_lshlrev_b64_e32 v[189:190], 4, v[192:193]
	s_wait_loadcnt 0xc
	v_mul_f64_e32 v[191:192], v[34:35], v[98:99]
	v_mul_f64_e32 v[98:99], v[154:155], v[98:99]
	v_mov_b32_e32 v195, v204
	v_add_nc_u32_e32 v207, 0x514, v208
	v_fma_f64 v[146:147], v[146:147], v[136:137], -v[200:201]
	s_delay_alu instid0(VALU_DEP_2)
	v_mad_co_u64_u32 v[198:199], null, s8, v207, 0
	v_add_nc_u32_e32 v205, 0x28a, v208
	v_fma_f64 v[8:9], v[8:9], v[132:133], v[126:127]
	v_add_co_u32 v126, vcc_lo, v104, v176
	s_wait_alu 0xfffd
	v_add_co_ci_u32_e32 v127, vcc_lo, v105, v177, vcc_lo
	v_add_co_u32 v130, vcc_lo, v104, v130
	s_wait_alu 0xfffd
	v_add_co_ci_u32_e32 v131, vcc_lo, v105, v131, vcc_lo
	;; [unrolled: 3-line block ×3, first 2 shown]
	v_fma_f64 v[38:39], v[38:39], v[136:137], v[128:129]
	v_add_co_u32 v128, vcc_lo, v104, v179
	v_fma_f64 v[124:125], v[168:169], v[132:133], -v[124:125]
	v_lshlrev_b64_e32 v[132:133], 4, v[194:195]
	s_wait_loadcnt 0xb
	v_mul_f64_e32 v[193:194], v[32:33], v[94:95]
	v_mul_f64_e32 v[94:95], v[152:153], v[94:95]
	s_wait_alu 0xfffd
	v_add_co_ci_u32_e32 v129, vcc_lo, v105, v180, vcc_lo
	s_wait_loadcnt 0xa
	v_mul_f64_e32 v[135:136], v[12:13], v[90:91]
	v_fma_f64 v[144:145], v[144:145], v[100:101], -v[187:188]
	s_wait_dscnt 0x0
	v_mul_f64_e32 v[90:91], v[118:119], v[90:91]
	s_wait_loadcnt 0x9
	v_mul_f64_e32 v[179:180], v[30:31], v[86:87]
	v_fma_f64 v[100:101], v[36:37], v[100:101], v[102:103]
	v_mul_f64_e32 v[36:37], v[162:163], v[86:87]
	s_wait_loadcnt 0x8
	v_mul_f64_e32 v[86:87], v[26:27], v[82:83]
	v_mul_f64_e32 v[82:83], v[158:159], v[82:83]
	v_fma_f64 v[154:155], v[154:155], v[96:97], -v[191:192]
	v_fma_f64 v[96:97], v[34:35], v[96:97], v[98:99]
	s_wait_loadcnt 0x6
	v_mul_f64_e32 v[34:35], v[28:29], v[58:59]
	v_add_co_u32 v102, vcc_lo, v104, v181
	s_wait_alu 0xfffd
	v_add_co_ci_u32_e32 v103, vcc_lo, v105, v182, vcc_lo
	v_add_co_u32 v98, vcc_lo, v104, v183
	s_wait_alu 0xfffd
	v_add_co_ci_u32_e32 v99, vcc_lo, v105, v184, vcc_lo
	;; [unrolled: 3-line block ×3, first 2 shown]
	v_add_co_u32 v185, vcc_lo, v104, v189
	v_mul_f64_e32 v[181:182], v[24:25], v[50:51]
	s_wait_alu 0xfffd
	v_add_co_ci_u32_e32 v186, vcc_lo, v105, v190, vcc_lo
	v_add_f64_e32 v[187:188], v[106:107], v[8:9]
	s_wait_loadcnt 0x5
	v_mul_f64_e32 v[189:190], v[22:23], v[78:79]
	s_wait_loadcnt 0x4
	v_mul_f64_e32 v[191:192], v[18:19], v[74:75]
	v_mul_f64_e32 v[78:79], v[166:167], v[78:79]
	;; [unrolled: 1-line block ×4, first 2 shown]
	v_fma_f64 v[152:153], v[152:153], v[92:93], -v[193:194]
	v_fma_f64 v[92:93], v[32:33], v[92:93], v[94:95]
	v_add_f64_e32 v[94:95], v[124:125], v[108:109]
	v_mul_f64_e32 v[74:75], v[116:117], v[74:75]
	v_fma_f64 v[118:119], v[118:119], v[88:89], -v[135:136]
	s_wait_loadcnt 0x2
	v_mul_f64_e32 v[136:137], v[10:11], v[54:55]
	v_fma_f64 v[12:13], v[12:13], v[88:89], v[90:91]
	v_mul_f64_e32 v[90:91], v[20:21], v[66:67]
	v_mul_f64_e32 v[66:67], v[164:165], v[66:67]
	;; [unrolled: 1-line block ×3, first 2 shown]
	v_fma_f64 v[86:87], v[158:159], v[80:81], -v[86:87]
	v_fma_f64 v[26:27], v[26:27], v[80:81], v[82:83]
	s_wait_loadcnt 0x1
	v_mul_f64_e32 v[80:81], v[14:15], v[70:71]
	s_wait_loadcnt 0x0
	v_mul_f64_e32 v[82:83], v[16:17], v[62:63]
	v_mul_f64_e32 v[70:71], v[120:121], v[70:71]
	;; [unrolled: 1-line block ×3, first 2 shown]
	v_mad_co_u64_u32 v[168:169], null, s9, v208, v[45:46]
	v_fma_f64 v[158:159], v[160:161], v[56:57], -v[34:35]
	v_mov_b32_e32 v34, v199
	v_mad_co_u64_u32 v[174:175], null, s8, v205, 0
	v_add_nc_u32_e32 v206, 0x3cf, v208
	v_fma_f64 v[88:89], v[162:163], v[84:85], -v[179:180]
	v_mov_b32_e32 v179, v168
	v_fma_f64 v[84:85], v[30:31], v[84:85], v[36:37]
	v_add_co_u32 v132, vcc_lo, v104, v132
	v_mad_co_u64_u32 v[196:197], null, s8, v206, 0
	v_mov_b32_e32 v45, v175
	v_mad_co_u64_u32 v[176:177], null, s9, v112, v[110:111]
	v_fma_f64 v[156:157], v[156:157], v[48:49], -v[181:182]
	v_fma_f64 v[166:167], v[166:167], v[76:77], -v[189:190]
	s_delay_alu instid0(VALU_DEP_4)
	v_mad_co_u64_u32 v[30:31], null, s9, v205, v[45:46]
	v_mov_b32_e32 v31, v197
	v_add_nc_u32_e32 v45, 0x400, v111
	v_fma_f64 v[116:117], v[116:117], v[72:73], -v[191:192]
	v_add_f64_e32 v[94:95], v[150:151], v[94:95]
	v_fma_f64 v[22:23], v[22:23], v[76:77], v[78:79]
	v_mad_co_u64_u32 v[35:36], null, s9, v206, v[31:32]
	v_mov_b32_e32 v175, v30
	ds_load_2addr_b64 v[30:33], v111 offset0:65 offset1:130
	v_fma_f64 v[28:29], v[28:29], v[56:57], v[58:59]
	v_fma_f64 v[24:25], v[24:25], v[48:49], v[50:51]
	;; [unrolled: 1-line block ×3, first 2 shown]
	v_fma_f64 v[48:49], v[164:165], v[64:65], -v[90:91]
	v_mad_co_u64_u32 v[110:111], null, s9, v207, v[34:35]
	v_add_f64_e32 v[111:112], v[42:43], v[187:188]
	v_fma_f64 v[50:51], v[170:171], v[52:53], -v[136:137]
	v_fma_f64 v[56:57], v[114:115], v[60:61], -v[82:83]
	v_fma_f64 v[58:59], v[120:121], v[68:69], -v[80:81]
	v_fma_f64 v[20:21], v[20:21], v[64:65], v[66:67]
	v_fma_f64 v[14:15], v[14:15], v[68:69], v[70:71]
	;; [unrolled: 1-line block ×4, first 2 shown]
	v_mov_b32_e32 v135, v176
	v_lshlrev_b64_e32 v[36:37], 4, v[178:179]
	s_wait_alu 0xfffd
	v_add_co_ci_u32_e32 v133, vcc_lo, v105, v133, vcc_lo
	v_lshlrev_b64_e32 v[162:163], 4, v[174:175]
	v_lshlrev_b64_e32 v[134:135], 4, v[134:135]
	v_add_f64_e64 v[54:55], v[150:151], -v[124:125]
	v_add_co_u32 v160, vcc_lo, v104, v36
	s_wait_alu 0xfffd
	v_add_co_ci_u32_e32 v161, vcc_lo, v105, v37, vcc_lo
	s_delay_alu instid0(VALU_DEP_4)
	v_add_co_u32 v114, vcc_lo, v104, v134
	s_wait_alu 0xfffd
	v_add_co_ci_u32_e32 v115, vcc_lo, v105, v135, vcc_lo
	v_add_co_u32 v120, vcc_lo, v104, v162
	s_wait_alu 0xfffd
	v_add_co_ci_u32_e32 v121, vcc_lo, v105, v163, vcc_lo
	v_add_f64_e64 v[60:61], v[118:119], -v[142:143]
	v_add_f64_e64 v[62:63], v[42:43], -v[12:13]
	v_add_f64_e32 v[64:65], v[124:125], v[142:143]
	v_add_f64_e64 v[68:69], v[124:125], -v[150:151]
	v_add_f64_e32 v[10:11], v[118:119], v[94:95]
	;; [unrolled: 2-line block ×3, first 2 shown]
	v_add_f64_e32 v[76:77], v[148:149], v[154:155]
	v_add_f64_e32 v[78:79], v[146:147], v[140:141]
	;; [unrolled: 1-line block ×5, first 2 shown]
	v_add_f64_e64 v[90:91], v[42:43], -v[8:9]
	v_add_f64_e64 v[94:95], v[12:13], -v[46:47]
	v_add_f64_e32 v[111:112], v[40:41], v[96:97]
	v_add_f64_e32 v[134:135], v[38:39], v[122:123]
	;; [unrolled: 1-line block ×9, first 2 shown]
	v_add_f64_e64 v[118:119], v[150:151], -v[118:119]
	v_add_f64_e64 v[150:151], v[8:9], -v[42:43]
	v_add_f64_e32 v[178:179], v[24:25], v[18:19]
	v_add_f64_e32 v[180:181], v[22:23], v[28:29]
	;; [unrolled: 1-line block ×4, first 2 shown]
	v_add_f64_e64 v[191:192], v[46:47], -v[12:13]
	v_add_f64_e32 v[12:13], v[42:43], v[12:13]
	v_add_f64_e64 v[42:43], v[146:147], -v[148:149]
	v_add_f64_e64 v[193:194], v[140:141], -v[154:155]
	;; [unrolled: 1-line block ×4, first 2 shown]
	v_mov_b32_e32 v197, v35
	ds_load_2addr_b64 v[34:37], v45 offset0:67 offset1:132
	v_add_f64_e64 v[124:125], v[124:125], -v[142:143]
	v_add_f64_e32 v[213:214], v[6:7], v[40:41]
	v_add_f64_e64 v[66:67], v[8:9], -v[46:47]
	v_fma_f64 v[64:65], v[64:65], -0.5, v[108:109]
	v_add_f64_e64 v[205:206], v[38:39], -v[40:41]
	v_add_f64_e32 v[10:11], v[142:143], v[10:11]
	s_wait_dscnt 0x1
	v_add_f64_e32 v[142:143], v[156:157], v[32:33]
	v_fma_f64 v[74:75], v[74:75], -0.5, v[108:109]
	v_add_f64_e64 v[108:109], v[26:27], -v[100:101]
	v_add_f64_e64 v[207:208], v[122:123], -v[96:97]
	;; [unrolled: 1-line block ×4, first 2 shown]
	v_add_f64_e32 v[8:9], v[70:71], v[46:47]
	v_add_f64_e64 v[45:46], v[144:145], -v[86:87]
	v_add_f64_e32 v[90:91], v[90:91], v[94:95]
	v_fma_f64 v[111:112], v[111:112], -0.5, v[6:7]
	v_fma_f64 v[6:7], v[134:135], -0.5, v[6:7]
	;; [unrolled: 1-line block ×4, first 2 shown]
	s_wait_dscnt 0x0
	v_add_f64_e32 v[203:204], v[148:149], v[36:37]
	v_fma_f64 v[76:77], v[76:77], -0.5, v[36:37]
	v_fma_f64 v[36:37], v[78:79], -0.5, v[36:37]
	;; [unrolled: 1-line block ×4, first 2 shown]
	v_add_f64_e64 v[82:83], v[86:87], -v[144:145]
	v_fma_f64 v[162:163], v[168:169], -0.5, v[32:33]
	v_fma_f64 v[32:33], v[170:171], -0.5, v[32:33]
	;; [unrolled: 1-line block ×4, first 2 shown]
	v_add_f64_e32 v[174:175], v[2:3], v[24:25]
	v_fma_f64 v[176:177], v[178:179], -0.5, v[2:3]
	v_fma_f64 v[2:3], v[180:181], -0.5, v[2:3]
	;; [unrolled: 1-line block ×4, first 2 shown]
	v_add_f64_e64 v[187:188], v[152:153], -v[88:89]
	v_add_f64_e64 v[94:95], v[92:93], -v[84:85]
	v_add_f64_e32 v[150:151], v[150:151], v[191:192]
	v_add_f64_e64 v[189:190], v[166:167], -v[156:157]
	v_fma_f64 v[164:165], v[164:165], -0.5, v[106:107]
	v_fma_f64 v[12:13], v[12:13], -0.5, v[106:107]
	v_add_f64_e64 v[106:107], v[158:159], -v[116:117]
	v_add_f64_e32 v[191:192], v[42:43], v[193:194]
	v_add_f64_e64 v[42:43], v[156:157], -v[166:167]
	v_add_f64_e32 v[193:194], v[199:200], v[201:202]
	v_add_f64_e64 v[199:200], v[116:117], -v[158:159]
	v_add_f64_e64 v[70:71], v[88:89], -v[152:153]
	v_add_f64_e32 v[54:55], v[54:55], v[60:61]
	v_add_f64_e64 v[60:61], v[100:101], -v[26:27]
	v_add_f64_e32 v[68:69], v[68:69], v[72:73]
	;; [unrolled: 2-line block ×3, first 2 shown]
	v_add_f64_e32 v[4:5], v[4:5], v[26:27]
	v_add_f64_e32 v[30:31], v[50:51], v[30:31]
	v_add_f64_e32 v[0:1], v[0:1], v[52:53]
	v_add_f64_e32 v[201:202], v[205:206], v[207:208]
	v_add_f64_e64 v[205:206], v[22:23], -v[24:25]
	v_add_f64_e32 v[207:208], v[209:210], v[211:212]
	v_add_f64_e64 v[209:210], v[28:29], -v[18:19]
	v_add_f64_e64 v[40:41], v[40:41], -v[96:97]
	v_add_f64_e32 v[142:143], v[166:167], v[142:143]
	v_add_f64_e64 v[156:157], v[156:157], -v[116:117]
	v_add_f64_e64 v[26:27], v[26:27], -v[92:93]
	;; [unrolled: 1-line block ×5, first 2 shown]
	global_store_b128 v[172:173], v[8:11], off
	v_add_f64_e32 v[174:175], v[22:23], v[174:175]
	v_add_f64_e32 v[187:188], v[82:83], v[187:188]
	v_add_f64_e32 v[108:109], v[108:109], v[94:95]
	v_add_f64_e64 v[94:95], v[50:51], -v[48:49]
	v_add_f64_e32 v[82:83], v[189:190], v[106:107]
	v_add_f64_e32 v[106:107], v[42:43], v[199:200]
	v_add_f64_e64 v[42:43], v[56:57], -v[58:59]
	v_add_f64_e32 v[211:212], v[45:46], v[70:71]
	v_add_f64_e64 v[45:46], v[24:25], -v[22:23]
	v_add_f64_e64 v[70:71], v[18:19], -v[28:29]
	v_add_f64_e32 v[215:216], v[60:61], v[72:73]
	v_add_f64_e64 v[60:61], v[48:49], -v[50:51]
	v_add_f64_e64 v[72:73], v[58:59], -v[56:57]
	v_add_f64_e32 v[34:35], v[144:145], v[34:35]
	v_add_f64_e32 v[4:5], v[100:101], v[4:5]
	v_add_f64_e64 v[199:200], v[20:21], -v[52:53]
	v_add_f64_e32 v[0:1], v[20:21], v[0:1]
	v_add_f64_e32 v[30:31], v[48:49], v[30:31]
	;; [unrolled: 1-line block ×3, first 2 shown]
	v_add_f64_e64 v[47:48], v[48:49], -v[58:59]
	v_add_f64_e64 v[144:145], v[144:145], -v[88:89]
	v_add_f64_e64 v[49:50], v[50:51], -v[56:57]
	v_add_f64_e64 v[100:101], v[100:101], -v[84:85]
	v_add_f64_e64 v[24:25], v[24:25], -v[18:19]
	v_add_f64_e64 v[22:23], v[22:23], -v[28:29]
	v_add_f64_e32 v[142:143], v[158:159], v[142:143]
	v_add_f64_e32 v[28:29], v[174:175], v[28:29]
	;; [unrolled: 1-line block ×5, first 2 shown]
	v_add_f64_e64 v[38:39], v[38:39], -v[122:123]
	v_add_f64_e32 v[205:206], v[45:46], v[70:71]
	v_add_f64_e64 v[70:71], v[52:53], -v[20:21]
	v_add_f64_e32 v[60:61], v[60:61], v[72:73]
	v_add_f64_e64 v[72:73], v[16:17], -v[14:15]
	v_add_f64_e64 v[20:21], v[20:21], -v[14:15]
	v_add_f64_e64 v[52:53], v[52:53], -v[16:17]
	v_add_f64_e64 v[45:46], v[14:15], -v[16:17]
	v_add_f64_e64 v[146:147], v[146:147], -v[140:141]
	v_add_f64_e32 v[88:89], v[88:89], v[34:35]
	v_add_f64_e32 v[84:85], v[4:5], v[84:85]
	v_fma_f64 v[4:5], v[40:41], s[12:13], v[36:37]
	v_fma_f64 v[36:37], v[40:41], s[14:15], v[36:37]
	v_add_f64_e32 v[30:31], v[58:59], v[30:31]
	v_add_f64_e32 v[14:15], v[0:1], v[14:15]
	v_fma_f64 v[0:1], v[47:48], s[12:13], v[178:179]
	v_fma_f64 v[178:179], v[47:48], s[14:15], v[178:179]
	;; [unrolled: 4-line block ×3, first 2 shown]
	v_fma_f64 v[203:204], v[124:125], s[14:15], v[12:13]
	v_fma_f64 v[12:13], v[124:125], s[12:13], v[12:13]
	v_add_f64_e32 v[70:71], v[70:71], v[72:73]
	v_fma_f64 v[72:73], v[66:67], s[12:13], v[74:75]
	v_fma_f64 v[74:75], v[66:67], s[14:15], v[74:75]
	;; [unrolled: 1-line block ×8, first 2 shown]
	v_add_f64_e32 v[45:46], v[199:200], v[45:46]
	v_fma_f64 v[199:200], v[62:63], s[14:15], v[64:65]
	v_fma_f64 v[64:65], v[62:63], s[12:13], v[64:65]
	;; [unrolled: 1-line block ×45, first 2 shown]
	v_add_f64_e32 v[2:3], v[116:117], v[142:143]
	v_fma_f64 v[40:41], v[47:48], s[2:3], v[40:41]
	v_fma_f64 v[47:48], v[47:48], s[6:7], v[34:35]
	v_mad_co_u64_u32 v[178:179], null, s8, v44, 0
	v_fma_f64 v[217:218], v[22:23], s[6:7], v[12:13]
	v_fma_f64 v[10:11], v[191:192], s[0:1], v[209:210]
	;; [unrolled: 1-line block ×3, first 2 shown]
	v_add_f64_e32 v[4:5], v[14:15], v[16:17]
	v_fma_f64 v[223:224], v[26:27], s[2:3], v[74:75]
	v_fma_f64 v[225:226], v[26:27], s[6:7], v[78:79]
	;; [unrolled: 1-line block ×16, first 2 shown]
	v_add_f64_e32 v[0:1], v[28:29], v[18:19]
	v_fma_f64 v[18:19], v[54:55], s[0:1], v[64:65]
	v_fma_f64 v[14:15], v[54:55], s[0:1], v[199:200]
	;; [unrolled: 1-line block ×10, first 2 shown]
	v_add_f64_e32 v[6:7], v[56:57], v[30:31]
	v_fma_f64 v[32:33], v[45:46], s[0:1], v[49:50]
	v_fma_f64 v[40:41], v[70:71], s[0:1], v[40:41]
	;; [unrolled: 1-line block ×8, first 2 shown]
	v_add_f64_e32 v[51:52], v[154:155], v[94:95]
	v_add_f64_e32 v[49:50], v[122:123], v[96:97]
	;; [unrolled: 1-line block ×3, first 2 shown]
	s_clause 0xa
	global_store_b128 v[130:131], v[24:27], off
	global_store_b128 v[138:139], v[16:19], off
	;; [unrolled: 1-line block ×11, first 2 shown]
	v_fma_f64 v[71:72], v[82:83], s[0:1], v[74:75]
	v_fma_f64 v[75:76], v[82:83], s[0:1], v[78:79]
	;; [unrolled: 1-line block ×6, first 2 shown]
	v_add_nc_u32_e32 v7, 0x145, v44
	v_lshlrev_b64_e32 v[0:1], 4, v[196:197]
	v_mov_b32_e32 v199, v110
	v_add_f64_e32 v[55:56], v[152:153], v[88:89]
	v_fma_f64 v[91:92], v[187:188], s[0:1], v[100:101]
	v_mad_co_u64_u32 v[3:4], null, s8, v7, 0
	v_add_co_u32 v0, vcc_lo, v104, v0
	v_lshlrev_b64_e32 v[5:6], 4, v[198:199]
	s_wait_alu 0xfffd
	v_add_co_ci_u32_e32 v1, vcc_lo, v105, v1, vcc_lo
	v_fma_f64 v[89:90], v[108:109], s[0:1], v[136:137]
	s_clause 0x1
	global_store_b128 v[120:121], v[73:76], off
	global_store_b128 v[0:1], v[69:72], off
	v_mov_b32_e32 v0, v4
	v_add_co_u32 v1, vcc_lo, v104, v5
	v_dual_mov_b32 v2, v179 :: v_dual_add_nc_u32 v15, 0x3cf, v44
	v_fma_f64 v[83:84], v[211:212], s[0:1], v[225:226]
	s_delay_alu instid0(VALU_DEP_3) | instskip(SKIP_1) | instid1(VALU_DEP_4)
	v_mad_co_u64_u32 v[4:5], null, s9, v7, v[0:1]
	v_add_nc_u32_e32 v7, 0x28a, v44
	v_mad_co_u64_u32 v[12:13], null, s9, v44, v[2:3]
	s_wait_alu 0xfffd
	v_add_co_ci_u32_e32 v2, vcc_lo, v105, v6, vcc_lo
	s_delay_alu instid0(VALU_DEP_3)
	v_mad_co_u64_u32 v[5:6], null, s8, v7, 0
	v_lshlrev_b64_e32 v[3:4], 4, v[3:4]
	global_store_b128 v[1:2], v[93:96], off
	v_mov_b32_e32 v179, v12
	v_mad_co_u64_u32 v[12:13], null, s8, v15, 0
	v_fma_f64 v[81:82], v[215:216], s[0:1], v[229:230]
	v_mov_b32_e32 v2, v6
	s_delay_alu instid0(VALU_DEP_4)
	v_lshlrev_b64_e32 v[0:1], 4, v[178:179]
	v_add_nc_u32_e32 v17, 0x514, v44
	v_fma_f64 v[79:80], v[211:212], s[0:1], v[223:224]
	v_fma_f64 v[77:78], v[215:216], s[0:1], v[227:228]
	v_mov_b32_e32 v6, v13
	v_mad_co_u64_u32 v[13:14], null, s9, v7, v[2:3]
	v_add_co_u32 v0, vcc_lo, v104, v0
	s_wait_alu 0xfffd
	v_add_co_ci_u32_e32 v1, vcc_lo, v105, v1, vcc_lo
	v_mad_co_u64_u32 v[14:15], null, s9, v15, v[6:7]
	v_mad_co_u64_u32 v[15:16], null, s8, v17, 0
	v_add_co_u32 v2, vcc_lo, v104, v3
	s_wait_alu 0xfffd
	v_add_co_ci_u32_e32 v3, vcc_lo, v105, v4, vcc_lo
	v_mov_b32_e32 v6, v13
	v_mul_hi_u32 v7, 0xc9a633fd, v113
	s_clause 0x1
	global_store_b128 v[0:1], v[53:56], off
	global_store_b128 v[2:3], v[89:92], off
	v_mov_b32_e32 v0, v16
	v_lshlrev_b64_e32 v[1:2], 4, v[5:6]
	v_fma_f64 v[87:88], v[187:188], s[0:1], v[164:165]
	v_fma_f64 v[85:86], v[108:109], s[0:1], v[148:149]
	;; [unrolled: 1-line block ×5, first 2 shown]
	v_mad_co_u64_u32 v[5:6], null, s9, v17, v[0:1]
	v_lshrrev_b32_e32 v6, 8, v7
	v_add_co_u32 v0, vcc_lo, v104, v1
	s_wait_alu 0xfffd
	v_add_co_ci_u32_e32 v1, vcc_lo, v105, v2, vcc_lo
	s_delay_alu instid0(VALU_DEP_3)
	v_mad_u32_u24 v17, 0x514, v6, v113
	v_dual_mov_b32 v13, v14 :: v_dual_mov_b32 v16, v5
	global_store_b128 v[0:1], v[81:84], off
	v_fma_f64 v[8:9], v[201:202], s[0:1], v[158:159]
	v_add_nc_u32_e32 v20, 0x514, v17
	v_lshlrev_b64_e32 v[3:4], 4, v[12:13]
	v_lshlrev_b64_e32 v[0:1], 4, v[15:16]
	v_add_nc_u32_e32 v16, 0x28a, v17
	v_add_nc_u32_e32 v14, 0x145, v17
	;; [unrolled: 1-line block ×3, first 2 shown]
	v_fma_f64 v[63:64], v[193:194], s[0:1], v[180:181]
	v_add_co_u32 v2, vcc_lo, v104, v3
	s_wait_alu 0xfffd
	v_add_co_ci_u32_e32 v3, vcc_lo, v105, v4, vcc_lo
	v_mad_co_u64_u32 v[4:5], null, s8, v17, 0
	v_mad_co_u64_u32 v[6:7], null, s8, v16, 0
	global_store_b128 v[2:3], v[77:80], off
	v_mad_co_u64_u32 v[2:3], null, s8, v14, 0
	v_add_co_u32 v0, vcc_lo, v104, v0
	s_wait_alu 0xfffd
	v_add_co_ci_u32_e32 v1, vcc_lo, v105, v1, vcc_lo
	v_mad_co_u64_u32 v[12:13], null, s9, v17, v[5:6]
	s_delay_alu instid0(VALU_DEP_4)
	v_mad_co_u64_u32 v[13:14], null, s9, v14, v[3:4]
	v_mov_b32_e32 v3, v7
	v_mad_co_u64_u32 v[14:15], null, s8, v19, 0
	v_fma_f64 v[61:62], v[207:208], s[0:1], v[221:222]
	global_store_b128 v[0:1], v[85:88], off
	v_mad_co_u64_u32 v[16:17], null, s9, v16, v[3:4]
	v_mad_co_u64_u32 v[17:18], null, s8, v20, 0
	v_dual_mov_b32 v0, v15 :: v_dual_mov_b32 v3, v13
	v_mov_b32_e32 v5, v12
	s_delay_alu instid0(VALU_DEP_4) | instskip(NEXT) | instid1(VALU_DEP_3)
	v_mov_b32_e32 v7, v16
	v_mad_co_u64_u32 v[0:1], null, s9, v19, v[0:1]
	s_delay_alu instid0(VALU_DEP_4) | instskip(SKIP_3) | instid1(VALU_DEP_3)
	v_lshlrev_b64_e32 v[2:3], 4, v[2:3]
	v_mov_b32_e32 v1, v18
	v_lshlrev_b64_e32 v[4:5], 4, v[4:5]
	v_lshlrev_b64_e32 v[6:7], 4, v[6:7]
	v_mad_co_u64_u32 v[12:13], null, s9, v20, v[1:2]
	s_delay_alu instid0(VALU_DEP_3)
	v_add_co_u32 v4, vcc_lo, v104, v4
	v_mov_b32_e32 v15, v0
	s_wait_alu 0xfffd
	v_add_co_ci_u32_e32 v5, vcc_lo, v105, v5, vcc_lo
	v_add_co_u32 v0, vcc_lo, v104, v2
	v_mov_b32_e32 v18, v12
	s_wait_alu 0xfffd
	v_add_co_ci_u32_e32 v1, vcc_lo, v105, v3, vcc_lo
	v_lshlrev_b64_e32 v[2:3], 4, v[14:15]
	v_add_co_u32 v6, vcc_lo, v104, v6
	v_lshlrev_b64_e32 v[12:13], 4, v[17:18]
	s_wait_alu 0xfffd
	v_add_co_ci_u32_e32 v7, vcc_lo, v105, v7, vcc_lo
	s_delay_alu instid0(VALU_DEP_4)
	v_add_co_u32 v2, vcc_lo, v104, v2
	s_wait_alu 0xfffd
	v_add_co_ci_u32_e32 v3, vcc_lo, v105, v3, vcc_lo
	v_add_co_u32 v12, vcc_lo, v104, v12
	s_wait_alu 0xfffd
	v_add_co_ci_u32_e32 v13, vcc_lo, v105, v13, vcc_lo
	s_clause 0x4
	global_store_b128 v[4:5], v[49:52], off
	global_store_b128 v[0:1], v[65:68], off
	;; [unrolled: 1-line block ×5, first 2 shown]
.LBB0_19:
	s_nop 0
	s_sendmsg sendmsg(MSG_DEALLOC_VGPRS)
	s_endpgm
	.section	.rodata,"a",@progbits
	.p2align	6, 0x0
	.amdhsa_kernel fft_rtc_back_len1625_factors_13_5_5_5_wgs_130_tpt_65_halfLds_dp_ip_CI_sbrr_dirReg
		.amdhsa_group_segment_fixed_size 0
		.amdhsa_private_segment_fixed_size 0
		.amdhsa_kernarg_size 88
		.amdhsa_user_sgpr_count 2
		.amdhsa_user_sgpr_dispatch_ptr 0
		.amdhsa_user_sgpr_queue_ptr 0
		.amdhsa_user_sgpr_kernarg_segment_ptr 1
		.amdhsa_user_sgpr_dispatch_id 0
		.amdhsa_user_sgpr_private_segment_size 0
		.amdhsa_wavefront_size32 1
		.amdhsa_uses_dynamic_stack 0
		.amdhsa_enable_private_segment 0
		.amdhsa_system_sgpr_workgroup_id_x 1
		.amdhsa_system_sgpr_workgroup_id_y 0
		.amdhsa_system_sgpr_workgroup_id_z 0
		.amdhsa_system_sgpr_workgroup_info 0
		.amdhsa_system_vgpr_workitem_id 0
		.amdhsa_next_free_vgpr 231
		.amdhsa_next_free_sgpr 46
		.amdhsa_reserve_vcc 1
		.amdhsa_float_round_mode_32 0
		.amdhsa_float_round_mode_16_64 0
		.amdhsa_float_denorm_mode_32 3
		.amdhsa_float_denorm_mode_16_64 3
		.amdhsa_fp16_overflow 0
		.amdhsa_workgroup_processor_mode 1
		.amdhsa_memory_ordered 1
		.amdhsa_forward_progress 0
		.amdhsa_round_robin_scheduling 0
		.amdhsa_exception_fp_ieee_invalid_op 0
		.amdhsa_exception_fp_denorm_src 0
		.amdhsa_exception_fp_ieee_div_zero 0
		.amdhsa_exception_fp_ieee_overflow 0
		.amdhsa_exception_fp_ieee_underflow 0
		.amdhsa_exception_fp_ieee_inexact 0
		.amdhsa_exception_int_div_zero 0
	.end_amdhsa_kernel
	.text
.Lfunc_end0:
	.size	fft_rtc_back_len1625_factors_13_5_5_5_wgs_130_tpt_65_halfLds_dp_ip_CI_sbrr_dirReg, .Lfunc_end0-fft_rtc_back_len1625_factors_13_5_5_5_wgs_130_tpt_65_halfLds_dp_ip_CI_sbrr_dirReg
                                        ; -- End function
	.section	.AMDGPU.csdata,"",@progbits
; Kernel info:
; codeLenInByte = 21192
; NumSgprs: 48
; NumVgprs: 231
; ScratchSize: 0
; MemoryBound: 1
; FloatMode: 240
; IeeeMode: 1
; LDSByteSize: 0 bytes/workgroup (compile time only)
; SGPRBlocks: 5
; VGPRBlocks: 28
; NumSGPRsForWavesPerEU: 48
; NumVGPRsForWavesPerEU: 231
; Occupancy: 6
; WaveLimiterHint : 1
; COMPUTE_PGM_RSRC2:SCRATCH_EN: 0
; COMPUTE_PGM_RSRC2:USER_SGPR: 2
; COMPUTE_PGM_RSRC2:TRAP_HANDLER: 0
; COMPUTE_PGM_RSRC2:TGID_X_EN: 1
; COMPUTE_PGM_RSRC2:TGID_Y_EN: 0
; COMPUTE_PGM_RSRC2:TGID_Z_EN: 0
; COMPUTE_PGM_RSRC2:TIDIG_COMP_CNT: 0
	.text
	.p2alignl 7, 3214868480
	.fill 96, 4, 3214868480
	.type	__hip_cuid_9dc999ce73736aec,@object ; @__hip_cuid_9dc999ce73736aec
	.section	.bss,"aw",@nobits
	.globl	__hip_cuid_9dc999ce73736aec
__hip_cuid_9dc999ce73736aec:
	.byte	0                               ; 0x0
	.size	__hip_cuid_9dc999ce73736aec, 1

	.ident	"AMD clang version 19.0.0git (https://github.com/RadeonOpenCompute/llvm-project roc-6.4.0 25133 c7fe45cf4b819c5991fe208aaa96edf142730f1d)"
	.section	".note.GNU-stack","",@progbits
	.addrsig
	.addrsig_sym __hip_cuid_9dc999ce73736aec
	.amdgpu_metadata
---
amdhsa.kernels:
  - .args:
      - .actual_access:  read_only
        .address_space:  global
        .offset:         0
        .size:           8
        .value_kind:     global_buffer
      - .offset:         8
        .size:           8
        .value_kind:     by_value
      - .actual_access:  read_only
        .address_space:  global
        .offset:         16
        .size:           8
        .value_kind:     global_buffer
      - .actual_access:  read_only
        .address_space:  global
        .offset:         24
        .size:           8
        .value_kind:     global_buffer
      - .offset:         32
        .size:           8
        .value_kind:     by_value
      - .actual_access:  read_only
        .address_space:  global
        .offset:         40
        .size:           8
        .value_kind:     global_buffer
      - .actual_access:  read_only
        .address_space:  global
        .offset:         48
        .size:           8
        .value_kind:     global_buffer
      - .offset:         56
        .size:           4
        .value_kind:     by_value
      - .actual_access:  read_only
        .address_space:  global
        .offset:         64
        .size:           8
        .value_kind:     global_buffer
      - .actual_access:  read_only
        .address_space:  global
        .offset:         72
        .size:           8
        .value_kind:     global_buffer
      - .address_space:  global
        .offset:         80
        .size:           8
        .value_kind:     global_buffer
    .group_segment_fixed_size: 0
    .kernarg_segment_align: 8
    .kernarg_segment_size: 88
    .language:       OpenCL C
    .language_version:
      - 2
      - 0
    .max_flat_workgroup_size: 130
    .name:           fft_rtc_back_len1625_factors_13_5_5_5_wgs_130_tpt_65_halfLds_dp_ip_CI_sbrr_dirReg
    .private_segment_fixed_size: 0
    .sgpr_count:     48
    .sgpr_spill_count: 0
    .symbol:         fft_rtc_back_len1625_factors_13_5_5_5_wgs_130_tpt_65_halfLds_dp_ip_CI_sbrr_dirReg.kd
    .uniform_work_group_size: 1
    .uses_dynamic_stack: false
    .vgpr_count:     231
    .vgpr_spill_count: 0
    .wavefront_size: 32
    .workgroup_processor_mode: 1
amdhsa.target:   amdgcn-amd-amdhsa--gfx1201
amdhsa.version:
  - 1
  - 2
...

	.end_amdgpu_metadata
